;; amdgpu-corpus repo=ROCm/rocFFT kind=compiled arch=gfx906 opt=O3
	.text
	.amdgcn_target "amdgcn-amd-amdhsa--gfx906"
	.amdhsa_code_object_version 6
	.protected	bluestein_single_fwd_len847_dim1_dp_op_CI_CI ; -- Begin function bluestein_single_fwd_len847_dim1_dp_op_CI_CI
	.globl	bluestein_single_fwd_len847_dim1_dp_op_CI_CI
	.p2align	8
	.type	bluestein_single_fwd_len847_dim1_dp_op_CI_CI,@function
bluestein_single_fwd_len847_dim1_dp_op_CI_CI: ; @bluestein_single_fwd_len847_dim1_dp_op_CI_CI
; %bb.0:
	v_mul_u32_u24_e32 v1, 0x354, v0
	s_mov_b64 s[42:43], s[2:3]
	s_load_dwordx4 s[16:19], s[4:5], 0x28
	v_lshrrev_b32_e32 v1, 16, v1
	s_mov_b64 s[40:41], s[0:1]
	v_mad_u64_u32 v[188:189], s[0:1], s6, 3, v[1:2]
	v_mov_b32_e32 v189, 0
	s_add_u32 s40, s40, s7
	s_waitcnt lgkmcnt(0)
	v_cmp_gt_u64_e32 vcc, s[16:17], v[188:189]
	s_addc_u32 s41, s41, 0
	s_and_saveexec_b64 s[0:1], vcc
	s_cbranch_execz .LBB0_10
; %bb.1:
	s_load_dwordx4 s[0:3], s[4:5], 0x18
	s_load_dwordx4 s[12:15], s[4:5], 0x0
	v_mul_lo_u16_e32 v1, 0x4d, v1
	v_sub_u16_e32 v189, v0, v1
	v_lshlrev_b32_e32 v100, 4, v189
	s_waitcnt lgkmcnt(0)
	s_load_dwordx4 s[8:11], s[0:1], 0x0
	s_mov_b32 s26, 0xf8bb580b
	s_mov_b32 s27, 0xbfe14ced
	;; [unrolled: 1-line block ×4, first 2 shown]
	s_waitcnt lgkmcnt(0)
	v_mad_u64_u32 v[0:1], s[0:1], s10, v188, 0
	v_mad_u64_u32 v[2:3], s[0:1], s8, v189, 0
	s_mul_i32 s6, s9, 0x4d0
	s_mul_hi_u32 s7, s8, 0x4d0
	v_mad_u64_u32 v[4:5], s[0:1], s11, v188, v[1:2]
	s_add_i32 s6, s7, s6
	s_mul_i32 s7, s8, 0x4d0
	v_mad_u64_u32 v[5:6], s[0:1], s9, v189, v[3:4]
	v_mov_b32_e32 v1, v4
	v_lshlrev_b64 v[0:1], 4, v[0:1]
	v_mov_b32_e32 v6, s19
	v_mov_b32_e32 v3, v5
	v_add_co_u32_e32 v4, vcc, s18, v0
	v_addc_co_u32_e32 v5, vcc, v6, v1, vcc
	v_lshlrev_b64 v[0:1], 4, v[2:3]
	v_mov_b32_e32 v2, s13
	v_add_co_u32_e32 v0, vcc, v4, v0
	v_add_co_u32_e64 v148, s[0:1], s12, v100
	v_addc_co_u32_e32 v1, vcc, v5, v1, vcc
	v_addc_co_u32_e64 v88, vcc, 0, v2, s[0:1]
	global_load_dwordx4 v[44:47], v[0:1], off
	v_mov_b32_e32 v2, s6
	v_add_co_u32_e32 v0, vcc, s7, v0
	v_addc_co_u32_e32 v1, vcc, v1, v2, vcc
	global_load_dwordx4 v[40:43], v100, s[12:13]
	global_load_dwordx4 v[24:27], v100, s[12:13] offset:1232
	v_mov_b32_e32 v3, s6
	v_add_co_u32_e32 v2, vcc, s7, v0
	v_addc_co_u32_e32 v3, vcc, v1, v3, vcc
	global_load_dwordx4 v[48:51], v[0:1], off
	global_load_dwordx4 v[52:55], v[2:3], off
	global_load_dwordx4 v[28:31], v100, s[12:13] offset:2464
	global_load_dwordx4 v[8:11], v100, s[12:13] offset:3696
	v_mov_b32_e32 v1, s6
	v_add_co_u32_e32 v0, vcc, s7, v2
	v_addc_co_u32_e32 v1, vcc, v3, v1, vcc
	v_mov_b32_e32 v3, s6
	v_add_co_u32_e32 v2, vcc, s7, v0
	v_addc_co_u32_e32 v3, vcc, v1, v3, vcc
	s_movk_i32 s8, 0x1000
	global_load_dwordx4 v[56:59], v[0:1], off
	global_load_dwordx4 v[60:63], v[2:3], off
	v_add_co_u32_e32 v0, vcc, s8, v148
	v_addc_co_u32_e32 v1, vcc, 0, v88, vcc
	v_mov_b32_e32 v4, s6
	v_add_co_u32_e32 v2, vcc, s7, v2
	v_addc_co_u32_e32 v3, vcc, v3, v4, vcc
	global_load_dwordx4 v[64:67], v[2:3], off
	global_load_dwordx4 v[36:39], v[0:1], off offset:832
	global_load_dwordx4 v[16:19], v[0:1], off offset:2064
	v_add_co_u32_e32 v2, vcc, s7, v2
	v_addc_co_u32_e32 v3, vcc, v3, v4, vcc
	global_load_dwordx4 v[68:71], v[2:3], off
	global_load_dwordx4 v[4:7], v[0:1], off offset:3296
	v_mov_b32_e32 v1, s6
	v_add_co_u32_e32 v0, vcc, s7, v2
	v_addc_co_u32_e32 v1, vcc, v3, v1, vcc
	s_movk_i32 s8, 0x2000
	v_add_co_u32_e32 v20, vcc, s8, v148
	v_addc_co_u32_e32 v21, vcc, 0, v88, vcc
	global_load_dwordx4 v[72:75], v[0:1], off
	v_mov_b32_e32 v2, s6
	v_add_co_u32_e32 v0, vcc, s7, v0
	v_addc_co_u32_e32 v1, vcc, v1, v2, vcc
	v_add_co_u32_e32 v22, vcc, s7, v0
	v_addc_co_u32_e32 v23, vcc, v1, v2, vcc
	global_load_dwordx4 v[76:79], v[0:1], off
	global_load_dwordx4 v[32:35], v[20:21], off offset:432
	global_load_dwordx4 v[12:15], v[20:21], off offset:1664
	global_load_dwordx4 v[80:83], v[22:23], off
	global_load_dwordx4 v[101:104], v[20:21], off offset:2896
	v_mov_b32_e32 v0, s6
	v_add_co_u32_e32 v20, vcc, s7, v22
	v_addc_co_u32_e32 v21, vcc, v23, v0, vcc
	s_movk_i32 s6, 0x3000
	global_load_dwordx4 v[84:87], v[20:21], off
	v_add_co_u32_e32 v20, vcc, s6, v148
	v_addc_co_u32_e32 v21, vcc, 0, v88, vcc
	s_mov_b32 s6, 0xaaaaaaab
	v_mul_hi_u32 v0, v188, s6
	global_load_dwordx4 v[20:23], v[20:21], off offset:32
	s_load_dwordx4 s[8:11], s[2:3], 0x0
	s_mov_b32 s7, 0xbfed1bb4
	v_lshrrev_b32_e32 v0, 1, v0
	v_lshl_add_u32 v0, v0, 1, v0
	v_sub_u32_e32 v0, v188, v0
	v_mul_u32_u24_e32 v0, 0x34f, v0
	v_lshlrev_b32_e32 v191, 4, v0
	v_add_u32_e32 v190, v100, v191
	s_waitcnt vmcnt(20)
	v_mul_f64 v[88:89], v[46:47], v[42:43]
	v_mul_f64 v[90:91], v[44:45], v[42:43]
	s_mov_b32 s6, 0x8eee2c13
	s_load_dwordx2 s[2:3], s[4:5], 0x38
	s_mov_b32 s4, 0xd9c712b6
	s_mov_b32 s5, 0x3fda9628
	s_waitcnt vmcnt(18)
	v_mul_f64 v[92:93], v[50:51], v[26:27]
	v_mul_f64 v[94:95], v[48:49], v[26:27]
	s_waitcnt vmcnt(16)
	v_mul_f64 v[96:97], v[54:55], v[30:31]
	v_mul_f64 v[98:99], v[52:53], v[30:31]
	v_fma_f64 v[44:45], v[44:45], v[40:41], v[88:89]
	v_fma_f64 v[46:47], v[46:47], v[40:41], -v[90:91]
	s_mov_b32 s18, 0x43842ef
	s_mov_b32 s22, 0xbb3a28a1
	v_fma_f64 v[48:49], v[48:49], v[24:25], v[92:93]
	v_fma_f64 v[50:51], v[50:51], v[24:25], -v[94:95]
	v_fma_f64 v[52:53], v[52:53], v[28:29], v[96:97]
	v_fma_f64 v[54:55], v[54:55], v[28:29], -v[98:99]
	ds_write_b128 v190, v[44:47]
	ds_write_b128 v190, v[48:51] offset:1232
	ds_write_b128 v190, v[52:55] offset:2464
	s_waitcnt vmcnt(14)
	v_mul_f64 v[44:45], v[58:59], v[10:11]
	v_mul_f64 v[46:47], v[56:57], v[10:11]
	s_mov_b32 s30, 0xfd768dbf
	s_mov_b32 s19, 0xbfefac9e
	s_mov_b32 s23, 0xbfe82f19
	s_waitcnt vmcnt(11)
	v_mul_f64 v[48:49], v[62:63], v[38:39]
	v_mul_f64 v[50:51], v[60:61], v[38:39]
	s_waitcnt vmcnt(10)
	v_mul_f64 v[52:53], v[66:67], v[18:19]
	v_fma_f64 v[44:45], v[56:57], v[8:9], v[44:45]
	v_fma_f64 v[46:47], v[58:59], v[8:9], -v[46:47]
	v_mul_f64 v[54:55], v[64:65], v[18:19]
	s_waitcnt vmcnt(8)
	v_mul_f64 v[88:89], v[70:71], v[6:7]
	v_mul_f64 v[90:91], v[68:69], v[6:7]
	v_fma_f64 v[48:49], v[60:61], v[36:37], v[48:49]
	v_fma_f64 v[50:51], v[62:63], v[36:37], -v[50:51]
	v_fma_f64 v[52:53], v[64:65], v[16:17], v[52:53]
	s_mov_b32 s31, 0xbfd207e7
	s_mov_b32 s16, 0x640f44db
	v_fma_f64 v[54:55], v[66:67], v[16:17], -v[54:55]
	v_fma_f64 v[56:57], v[68:69], v[4:5], v[88:89]
	v_fma_f64 v[58:59], v[70:71], v[4:5], -v[90:91]
	s_mov_b32 s24, 0x7f775887
	s_mov_b32 s28, 0x9bcd5057
	;; [unrolled: 1-line block ×10, first 2 shown]
	s_waitcnt vmcnt(5)
	v_mul_f64 v[60:61], v[74:75], v[34:35]
	v_mul_f64 v[62:63], v[72:73], v[34:35]
	s_waitcnt vmcnt(2)
	v_mul_f64 v[68:69], v[82:83], v[103:104]
	v_mul_f64 v[70:71], v[80:81], v[103:104]
	;; [unrolled: 1-line block ×4, first 2 shown]
	s_mov_b32 s34, s26
	v_mul_lo_u16_e32 v0, 11, v189
	v_fma_f64 v[60:61], v[72:73], v[32:33], v[60:61]
	v_fma_f64 v[62:63], v[74:75], v[32:33], -v[62:63]
	v_fma_f64 v[68:69], v[80:81], v[101:102], v[68:69]
	buffer_store_dword v101, off, s[40:43], 0 ; 4-byte Folded Spill
	s_nop 0
	buffer_store_dword v102, off, s[40:43], 0 offset:4 ; 4-byte Folded Spill
	buffer_store_dword v103, off, s[40:43], 0 offset:8 ; 4-byte Folded Spill
	buffer_store_dword v104, off, s[40:43], 0 offset:12 ; 4-byte Folded Spill
	v_fma_f64 v[64:65], v[76:77], v[12:13], v[64:65]
	v_fma_f64 v[66:67], v[78:79], v[12:13], -v[66:67]
	v_lshl_add_u32 v160, v0, 4, v191
	v_cmp_gt_u16_e32 vcc, 44, v189
	s_waitcnt vmcnt(4)
	v_mul_f64 v[88:89], v[86:87], v[22:23]
	v_mul_f64 v[90:91], v[84:85], v[22:23]
                                        ; implicit-def: $vgpr140_vgpr141
                                        ; implicit-def: $vgpr144_vgpr145
	v_fma_f64 v[72:73], v[84:85], v[20:21], v[88:89]
	v_fma_f64 v[74:75], v[86:87], v[20:21], -v[90:91]
	v_fma_f64 v[70:71], v[82:83], v[101:102], -v[70:71]
	ds_write_b128 v190, v[44:47] offset:3696
	ds_write_b128 v190, v[48:51] offset:4928
	;; [unrolled: 1-line block ×8, first 2 shown]
	s_waitcnt vmcnt(0) lgkmcnt(0)
	s_barrier
	ds_read_b128 v[48:51], v190
	ds_read_b128 v[44:47], v190 offset:1232
	ds_read_b128 v[52:55], v190 offset:2464
	;; [unrolled: 1-line block ×3, first 2 shown]
	s_waitcnt lgkmcnt(2)
	v_add_f64 v[60:61], v[48:49], v[44:45]
	v_add_f64 v[62:63], v[50:51], v[46:47]
	s_waitcnt lgkmcnt(1)
	v_add_f64 v[60:61], v[60:61], v[52:53]
	v_add_f64 v[62:63], v[62:63], v[54:55]
	;; [unrolled: 3-line block ×3, first 2 shown]
	ds_read_b128 v[60:63], v190 offset:4928
	ds_read_b128 v[64:67], v190 offset:6160
	s_waitcnt lgkmcnt(1)
	v_add_f64 v[68:69], v[68:69], v[60:61]
	v_add_f64 v[70:71], v[70:71], v[62:63]
	s_waitcnt lgkmcnt(0)
	v_add_f64 v[76:77], v[68:69], v[64:65]
	v_add_f64 v[78:79], v[70:71], v[66:67]
	ds_read_b128 v[68:71], v190 offset:7392
	ds_read_b128 v[72:75], v190 offset:8624
	s_waitcnt lgkmcnt(1)
	v_add_f64 v[76:77], v[76:77], v[68:69]
	v_add_f64 v[78:79], v[78:79], v[70:71]
	s_waitcnt lgkmcnt(0)
	v_add_f64 v[88:89], v[76:77], v[72:73]
	v_add_f64 v[90:91], v[78:79], v[74:75]
	ds_read_b128 v[76:79], v190 offset:9856
	ds_read_b128 v[80:83], v190 offset:11088
	;; [unrolled: 1-line block ×3, first 2 shown]
	s_waitcnt lgkmcnt(0)
	s_barrier
	v_add_f64 v[124:125], v[52:53], -v[80:81]
	v_add_f64 v[92:93], v[46:47], -v[86:87]
	;; [unrolled: 1-line block ×3, first 2 shown]
	v_add_f64 v[88:89], v[88:89], v[76:77]
	v_add_f64 v[90:91], v[90:91], v[78:79]
	v_add_f64 v[96:97], v[44:45], v[84:85]
	v_add_f64 v[98:99], v[46:47], v[86:87]
	v_add_f64 v[126:127], v[54:55], -v[82:83]
	v_add_f64 v[54:55], v[54:55], v[82:83]
	v_mul_f64 v[44:45], v[92:93], s[26:27]
	v_mul_f64 v[46:47], v[94:95], s[26:27]
	;; [unrolled: 1-line block ×4, first 2 shown]
	v_add_f64 v[88:89], v[88:89], v[80:81]
	v_add_f64 v[90:91], v[90:91], v[82:83]
	v_mul_f64 v[82:83], v[124:125], s[6:7]
	v_add_f64 v[52:53], v[52:53], v[80:81]
	v_fma_f64 v[104:105], v[96:97], s[20:21], -v[44:45]
	v_fma_f64 v[106:107], v[98:99], s[20:21], v[46:47]
	v_fma_f64 v[108:109], v[96:97], s[20:21], v[44:45]
	v_fma_f64 v[110:111], v[98:99], s[20:21], -v[46:47]
	v_fma_f64 v[112:113], v[96:97], s[4:5], -v[100:101]
	v_fma_f64 v[114:115], v[98:99], s[4:5], v[102:103]
	v_add_f64 v[44:45], v[88:89], v[84:85]
	v_add_f64 v[46:47], v[90:91], v[86:87]
	;; [unrolled: 1-line block ×8, first 2 shown]
	v_mul_f64 v[108:109], v[92:93], s[18:19]
	v_mul_f64 v[110:111], v[94:95], s[18:19]
	;; [unrolled: 1-line block ×6, first 2 shown]
	v_fma_f64 v[100:101], v[96:97], s[4:5], v[100:101]
	v_fma_f64 v[102:103], v[98:99], s[4:5], -v[102:103]
	v_fma_f64 v[116:117], v[96:97], s[16:17], -v[108:109]
	v_fma_f64 v[118:119], v[98:99], s[16:17], v[110:111]
	v_fma_f64 v[108:109], v[96:97], s[16:17], v[108:109]
	v_fma_f64 v[110:111], v[98:99], s[16:17], -v[110:111]
	v_fma_f64 v[120:121], v[96:97], s[24:25], -v[112:113]
	v_fma_f64 v[122:123], v[98:99], s[24:25], v[114:115]
	;; [unrolled: 4-line block ×3, first 2 shown]
	v_mul_f64 v[80:81], v[126:127], s[6:7]
	v_mul_f64 v[132:133], v[126:127], s[22:23]
	v_fma_f64 v[92:93], v[96:97], s[28:29], v[92:93]
	v_fma_f64 v[94:95], v[98:99], s[28:29], -v[94:95]
	v_fma_f64 v[98:99], v[54:55], s[4:5], v[82:83]
	v_fma_f64 v[82:83], v[54:55], s[4:5], -v[82:83]
	v_mul_f64 v[136:137], v[124:125], s[22:23]
	v_add_f64 v[100:101], v[48:49], v[100:101]
	v_add_f64 v[102:103], v[50:51], v[102:103]
	;; [unrolled: 1-line block ×12, first 2 shown]
	v_fma_f64 v[96:97], v[52:53], s[4:5], -v[80:81]
	v_fma_f64 v[80:81], v[52:53], s[4:5], v[80:81]
	v_fma_f64 v[134:135], v[52:53], s[24:25], -v[132:133]
	v_add_f64 v[48:49], v[48:49], v[92:93]
	v_add_f64 v[50:51], v[50:51], v[94:95]
	;; [unrolled: 1-line block ×3, first 2 shown]
	v_fma_f64 v[90:91], v[54:55], s[24:25], v[136:137]
	v_mul_f64 v[92:93], v[126:127], s[38:39]
	v_mul_f64 v[94:95], v[124:125], s[38:39]
	v_add_f64 v[86:87], v[98:99], v[86:87]
	v_add_f64 v[80:81], v[80:81], v[88:89]
	v_add_f64 v[88:89], v[134:135], v[104:105]
	v_fma_f64 v[98:99], v[52:53], s[24:25], v[132:133]
	v_fma_f64 v[104:105], v[54:55], s[24:25], -v[136:137]
	v_add_f64 v[90:91], v[90:91], v[106:107]
	v_fma_f64 v[106:107], v[52:53], s[28:29], -v[92:93]
	v_fma_f64 v[132:133], v[54:55], s[28:29], v[94:95]
	v_fma_f64 v[92:93], v[52:53], s[28:29], v[92:93]
	v_fma_f64 v[94:95], v[54:55], s[28:29], -v[94:95]
	v_mul_f64 v[136:137], v[124:125], s[36:37]
	v_add_f64 v[84:85], v[96:97], v[84:85]
	v_mul_f64 v[96:97], v[126:127], s[36:37]
	v_add_f64 v[98:99], v[98:99], v[100:101]
	v_add_f64 v[100:101], v[104:105], v[102:103]
	;; [unrolled: 1-line block ×5, first 2 shown]
	v_fma_f64 v[108:109], v[54:55], s[16:17], v[136:137]
	v_add_f64 v[110:111], v[58:59], -v[78:79]
	v_mul_f64 v[118:119], v[124:125], s[34:35]
	v_fma_f64 v[134:135], v[52:53], s[16:17], -v[96:97]
	v_add_f64 v[102:103], v[106:107], v[116:117]
	v_fma_f64 v[96:97], v[52:53], s[16:17], v[96:97]
	v_mul_f64 v[116:117], v[126:127], s[34:35]
	v_add_f64 v[58:59], v[58:59], v[78:79]
	v_add_f64 v[108:109], v[108:109], v[122:123]
	v_add_f64 v[122:123], v[56:57], -v[76:77]
	v_add_f64 v[56:57], v[56:57], v[76:77]
	v_mul_f64 v[76:77], v[110:111], s[18:19]
	v_fma_f64 v[124:125], v[54:55], s[20:21], v[118:119]
	v_add_f64 v[106:107], v[134:135], v[120:121]
	v_fma_f64 v[120:121], v[54:55], s[16:17], -v[136:137]
	v_add_f64 v[96:97], v[96:97], v[112:113]
	v_fma_f64 v[112:113], v[52:53], s[20:21], -v[116:117]
	v_mul_f64 v[78:79], v[122:123], s[18:19]
	v_fma_f64 v[52:53], v[52:53], s[20:21], v[116:117]
	v_fma_f64 v[54:55], v[54:55], s[20:21], -v[118:119]
	v_fma_f64 v[116:117], v[56:57], s[16:17], -v[76:77]
	v_add_f64 v[118:119], v[124:125], v[130:131]
	v_mul_f64 v[124:125], v[122:123], s[38:39]
	v_add_f64 v[114:115], v[120:121], v[114:115]
	v_mul_f64 v[120:121], v[110:111], s[38:39]
	v_fma_f64 v[126:127], v[58:59], s[16:17], v[78:79]
	v_add_f64 v[48:49], v[52:53], v[48:49]
	v_add_f64 v[50:51], v[54:55], v[50:51]
	;; [unrolled: 1-line block ×3, first 2 shown]
	v_fma_f64 v[54:55], v[56:57], s[16:17], v[76:77]
	v_fma_f64 v[76:77], v[58:59], s[16:17], -v[78:79]
	v_fma_f64 v[84:85], v[58:59], s[28:29], v[124:125]
	s_mov_b32 s7, 0x3fed1bb4
	v_fma_f64 v[78:79], v[56:57], s[28:29], -v[120:121]
	v_add_f64 v[86:87], v[126:127], v[86:87]
	v_mul_f64 v[116:117], v[110:111], s[6:7]
	v_mul_f64 v[126:127], v[122:123], s[6:7]
	v_add_f64 v[54:55], v[54:55], v[80:81]
	v_add_f64 v[76:77], v[76:77], v[82:83]
	;; [unrolled: 1-line block ×3, first 2 shown]
	v_fma_f64 v[82:83], v[56:57], s[28:29], v[120:121]
	v_fma_f64 v[84:85], v[58:59], s[28:29], -v[124:125]
	v_mul_f64 v[120:121], v[110:111], s[26:27]
	v_mul_f64 v[124:125], v[122:123], s[26:27]
	v_add_f64 v[78:79], v[78:79], v[88:89]
	v_fma_f64 v[88:89], v[56:57], s[4:5], -v[116:117]
	v_fma_f64 v[90:91], v[58:59], s[4:5], v[126:127]
	v_fma_f64 v[116:117], v[56:57], s[4:5], v[116:117]
	v_add_f64 v[82:83], v[82:83], v[98:99]
	v_add_f64 v[84:85], v[84:85], v[100:101]
	v_fma_f64 v[98:99], v[56:57], s[20:21], -v[120:121]
	v_fma_f64 v[100:101], v[58:59], s[20:21], v[124:125]
	v_fma_f64 v[126:127], v[58:59], s[4:5], -v[126:127]
	v_add_f64 v[88:89], v[88:89], v[102:103]
	v_add_f64 v[90:91], v[90:91], v[104:105]
	v_mul_f64 v[102:103], v[110:111], s[22:23]
	v_mul_f64 v[104:105], v[122:123], s[22:23]
	v_add_f64 v[92:93], v[116:117], v[92:93]
	v_add_f64 v[98:99], v[98:99], v[106:107]
	;; [unrolled: 1-line block ×3, first 2 shown]
	v_add_f64 v[106:107], v[62:63], -v[74:75]
	v_add_f64 v[108:109], v[60:61], -v[72:73]
	v_fma_f64 v[110:111], v[56:57], s[20:21], v[120:121]
	v_fma_f64 v[116:117], v[58:59], s[20:21], -v[124:125]
	v_fma_f64 v[120:121], v[56:57], s[24:25], -v[102:103]
	v_fma_f64 v[122:123], v[58:59], s[24:25], v[104:105]
	v_add_f64 v[60:61], v[60:61], v[72:73]
	v_add_f64 v[62:63], v[62:63], v[74:75]
	v_mul_f64 v[72:73], v[106:107], s[22:23]
	v_mul_f64 v[74:75], v[108:109], s[22:23]
	v_fma_f64 v[56:57], v[56:57], s[24:25], v[102:103]
	v_mul_f64 v[102:103], v[106:107], s[36:37]
	v_add_f64 v[96:97], v[110:111], v[96:97]
	v_add_f64 v[110:111], v[116:117], v[114:115]
	;; [unrolled: 1-line block ×3, first 2 shown]
	v_fma_f64 v[58:59], v[58:59], s[24:25], -v[104:105]
	v_mul_f64 v[104:105], v[108:109], s[36:37]
	v_fma_f64 v[116:117], v[60:61], s[24:25], -v[72:73]
	v_fma_f64 v[118:119], v[62:63], s[24:25], v[74:75]
	v_fma_f64 v[72:73], v[60:61], s[24:25], v[72:73]
	v_fma_f64 v[74:75], v[62:63], s[24:25], -v[74:75]
	v_add_f64 v[48:49], v[56:57], v[48:49]
	v_fma_f64 v[56:57], v[60:61], s[16:17], -v[102:103]
	v_add_f64 v[112:113], v[112:113], v[128:129]
	v_add_f64 v[50:51], v[58:59], v[50:51]
	v_fma_f64 v[58:59], v[62:63], s[16:17], v[104:105]
	v_add_f64 v[52:53], v[116:117], v[52:53]
	v_add_f64 v[54:55], v[72:73], v[54:55]
	;; [unrolled: 1-line block ×3, first 2 shown]
	v_mul_f64 v[74:75], v[106:107], s[26:27]
	v_add_f64 v[56:57], v[56:57], v[78:79]
	v_mul_f64 v[78:79], v[106:107], s[30:31]
	v_add_f64 v[112:113], v[120:121], v[112:113]
	;; [unrolled: 2-line block ×3, first 2 shown]
	v_mul_f64 v[80:81], v[108:109], s[30:31]
	v_fma_f64 v[104:105], v[62:63], s[16:17], -v[104:105]
	v_fma_f64 v[116:117], v[60:61], s[20:21], -v[74:75]
	v_fma_f64 v[74:75], v[60:61], s[20:21], v[74:75]
	v_fma_f64 v[120:121], v[60:61], s[28:29], -v[78:79]
	v_add_f64 v[94:95], v[126:127], v[94:95]
	v_add_f64 v[86:87], v[118:119], v[86:87]
	v_fma_f64 v[102:103], v[60:61], s[16:17], v[102:103]
	v_fma_f64 v[118:119], v[62:63], s[20:21], v[76:77]
	v_fma_f64 v[76:77], v[62:63], s[20:21], -v[76:77]
	v_fma_f64 v[122:123], v[62:63], s[28:29], v[80:81]
	v_add_f64 v[84:85], v[104:105], v[84:85]
	v_add_f64 v[88:89], v[116:117], v[88:89]
	;; [unrolled: 1-line block ×4, first 2 shown]
	v_add_f64 v[104:105], v[66:67], -v[70:71]
	v_add_f64 v[116:117], v[64:65], -v[68:69]
	v_mul_f64 v[98:99], v[106:107], s[6:7]
	v_add_f64 v[82:83], v[102:103], v[82:83]
	v_add_f64 v[76:77], v[76:77], v[94:95]
	;; [unrolled: 1-line block ×3, first 2 shown]
	v_mul_f64 v[100:101], v[108:109], s[6:7]
	v_fma_f64 v[78:79], v[60:61], s[28:29], v[78:79]
	v_add_f64 v[64:65], v[64:65], v[68:69]
	v_add_f64 v[66:67], v[66:67], v[70:71]
	v_mul_f64 v[68:69], v[104:105], s[30:31]
	v_mul_f64 v[70:71], v[116:117], s[30:31]
	v_fma_f64 v[102:103], v[60:61], s[4:5], -v[98:99]
	v_fma_f64 v[80:81], v[62:63], s[28:29], -v[80:81]
	v_fma_f64 v[106:107], v[62:63], s[4:5], v[100:101]
	v_add_f64 v[78:79], v[78:79], v[96:97]
	v_fma_f64 v[60:61], v[60:61], s[4:5], v[98:99]
	v_fma_f64 v[62:63], v[62:63], s[4:5], -v[100:101]
	v_fma_f64 v[96:97], v[64:65], s[28:29], -v[68:69]
	v_fma_f64 v[98:99], v[66:67], s[28:29], v[70:71]
	v_add_f64 v[108:109], v[102:103], v[112:113]
	v_mul_f64 v[100:101], v[104:105], s[34:35]
	v_mul_f64 v[102:103], v[116:117], s[34:35]
	v_add_f64 v[80:81], v[80:81], v[110:111]
	v_add_f64 v[110:111], v[106:107], v[114:115]
	;; [unrolled: 1-line block ×6, first 2 shown]
	v_fma_f64 v[52:53], v[64:65], s[28:29], v[68:69]
	v_fma_f64 v[60:61], v[66:67], s[28:29], -v[70:71]
	v_fma_f64 v[62:63], v[64:65], s[20:21], -v[100:101]
	v_fma_f64 v[68:69], v[66:67], s[20:21], v[102:103]
	v_mul_f64 v[70:71], v[104:105], s[22:23]
	v_mul_f64 v[86:87], v[116:117], s[22:23]
	v_fma_f64 v[96:97], v[64:65], s[20:21], v[100:101]
	v_fma_f64 v[98:99], v[66:67], s[20:21], -v[102:103]
	v_add_f64 v[100:101], v[52:53], v[54:55]
	v_add_f64 v[102:103], v[60:61], v[72:73]
	;; [unrolled: 1-line block ×4, first 2 shown]
	v_fma_f64 v[56:57], v[64:65], s[24:25], -v[70:71]
	v_fma_f64 v[60:61], v[64:65], s[24:25], v[70:71]
	v_fma_f64 v[62:63], v[66:67], s[24:25], -v[86:87]
	v_mul_f64 v[68:69], v[104:105], s[6:7]
	v_mul_f64 v[70:71], v[116:117], s[6:7]
	v_add_f64 v[96:97], v[96:97], v[82:83]
	v_mul_f64 v[72:73], v[104:105], s[18:19]
	v_mul_f64 v[82:83], v[116:117], s[18:19]
	v_add_f64 v[90:91], v[118:119], v[90:91]
	v_fma_f64 v[58:59], v[66:67], s[24:25], v[86:87]
	v_add_f64 v[104:105], v[60:61], v[74:75]
	v_add_f64 v[106:107], v[62:63], v[76:77]
	v_fma_f64 v[60:61], v[64:65], s[4:5], -v[68:69]
	v_fma_f64 v[62:63], v[66:67], s[4:5], v[70:71]
	v_fma_f64 v[74:75], v[64:65], s[16:17], -v[72:73]
	v_fma_f64 v[76:77], v[66:67], s[16:17], v[82:83]
	v_fma_f64 v[68:69], v[64:65], s[4:5], v[68:69]
	v_fma_f64 v[70:71], v[66:67], s[4:5], -v[70:71]
	v_fma_f64 v[72:73], v[64:65], s[16:17], v[72:73]
	v_fma_f64 v[82:83], v[66:67], s[16:17], -v[82:83]
	v_add_f64 v[56:57], v[56:57], v[88:89]
	v_add_f64 v[58:59], v[58:59], v[90:91]
	;; [unrolled: 1-line block ×11, first 2 shown]
	ds_write_b128 v160, v[44:47]
	ds_write_b128 v160, v[48:51] offset:16
	ds_write_b128 v160, v[52:55] offset:32
	;; [unrolled: 1-line block ×10, first 2 shown]
	s_waitcnt lgkmcnt(0)
	s_barrier
	ds_read_b128 v[108:111], v190
	ds_read_b128 v[136:139], v190 offset:1936
	ds_read_b128 v[132:135], v190 offset:3872
	;; [unrolled: 1-line block ×6, first 2 shown]
                                        ; implicit-def: $vgpr112_vgpr113
	s_and_saveexec_b64 s[4:5], vcc
	s_cbranch_execz .LBB0_3
; %bb.2:
	ds_read_b128 v[92:95], v190 offset:1232
	ds_read_b128 v[104:107], v190 offset:3168
	;; [unrolled: 1-line block ×7, first 2 shown]
.LBB0_3:
	s_or_b64 exec, exec, s[4:5]
	s_movk_i32 s4, 0x75
	v_mul_lo_u16_sdwa v0, v189, s4 dst_sel:DWORD dst_unused:UNUSED_PAD src0_sel:BYTE_0 src1_sel:DWORD
	v_sub_u16_sdwa v1, v189, v0 dst_sel:DWORD dst_unused:UNUSED_PAD src0_sel:DWORD src1_sel:BYTE_1
	v_lshrrev_b16_e32 v1, 1, v1
	v_and_b32_e32 v1, 0x7f, v1
	v_add_u16_sdwa v0, v1, v0 dst_sel:DWORD dst_unused:UNUSED_PAD src0_sel:DWORD src1_sel:BYTE_1
	v_lshrrev_b16_e32 v149, 3, v0
	v_mul_lo_u16_e32 v0, 11, v149
	v_sub_u16_e32 v150, v189, v0
	v_mov_b32_e32 v0, 6
	v_mul_u32_u24_sdwa v1, v150, v0 dst_sel:DWORD dst_unused:UNUSED_PAD src0_sel:BYTE_0 src1_sel:DWORD
	v_lshlrev_b32_e32 v1, 4, v1
	global_load_dwordx4 v[68:71], v1, s[14:15] offset:48
	global_load_dwordx4 v[72:75], v1, s[14:15] offset:32
	;; [unrolled: 1-line block ×3, first 2 shown]
	global_load_dwordx4 v[80:83], v1, s[14:15]
	global_load_dwordx4 v[84:87], v1, s[14:15] offset:80
	global_load_dwordx4 v[88:91], v1, s[14:15] offset:64
	v_add_u16_e32 v1, 0x4d, v189
	v_mul_lo_u16_sdwa v2, v1, s4 dst_sel:DWORD dst_unused:UNUSED_PAD src0_sel:BYTE_0 src1_sel:DWORD
	v_sub_u16_sdwa v3, v1, v2 dst_sel:DWORD dst_unused:UNUSED_PAD src0_sel:DWORD src1_sel:BYTE_1
	v_lshrrev_b16_e32 v3, 1, v3
	v_and_b32_e32 v3, 0x7f, v3
	v_add_u16_sdwa v2, v3, v2 dst_sel:DWORD dst_unused:UNUSED_PAD src0_sel:DWORD src1_sel:BYTE_1
	v_lshrrev_b16_e32 v255, 3, v2
	v_mul_lo_u16_e32 v2, 11, v255
	v_sub_u16_e32 v1, v1, v2
	v_mul_u32_u24_sdwa v0, v1, v0 dst_sel:DWORD dst_unused:UNUSED_PAD src0_sel:BYTE_0 src1_sel:DWORD
	buffer_store_dword v1, off, s[40:43], 0 offset:16 ; 4-byte Folded Spill
	v_lshlrev_b32_e32 v0, 4, v0
	global_load_dwordx4 v[52:55], v0, s[14:15]
	global_load_dwordx4 v[56:59], v0, s[14:15] offset:16
	global_load_dwordx4 v[48:51], v0, s[14:15] offset:32
	;; [unrolled: 1-line block ×5, first 2 shown]
	s_mov_b32 s6, 0x37e14327
	s_mov_b32 s4, 0x36b3c0b5
	;; [unrolled: 1-line block ×20, first 2 shown]
	v_mul_u32_u24_e32 v0, 0x4d, v149
	v_add_u32_sdwa v0, v0, v150 dst_sel:DWORD dst_unused:UNUSED_PAD src0_sel:DWORD src1_sel:BYTE_0
	s_waitcnt vmcnt(0) lgkmcnt(0)
	s_barrier
	v_mul_f64 v[165:166], v[126:127], v[70:71]
	v_mul_f64 v[161:162], v[130:131], v[74:75]
	;; [unrolled: 1-line block ×12, first 2 shown]
	v_fma_f64 v[136:137], v[136:137], v[80:81], -v[151:152]
	v_fma_f64 v[138:139], v[138:139], v[80:81], v[153:154]
	v_fma_f64 v[132:133], v[132:133], v[76:77], -v[155:156]
	v_fma_f64 v[134:135], v[134:135], v[76:77], v[157:158]
	v_fma_f64 v[120:121], v[120:121], v[88:89], -v[169:170]
	v_mul_f64 v[200:201], v[146:147], v[66:67]
	v_mul_f64 v[202:203], v[144:145], v[66:67]
	v_fma_f64 v[122:123], v[122:123], v[88:89], v[171:172]
	v_fma_f64 v[116:117], v[116:117], v[84:85], -v[173:174]
	v_fma_f64 v[118:119], v[118:119], v[84:85], v[175:176]
	v_fma_f64 v[128:129], v[128:129], v[72:73], -v[161:162]
	;; [unrolled: 2-line block ×4, first 2 shown]
	v_fma_f64 v[163:164], v[146:147], v[64:65], v[202:203]
	v_add_f64 v[144:145], v[136:137], v[116:117]
	v_add_f64 v[146:147], v[138:139], v[118:119]
	v_add_f64 v[116:117], v[136:137], -v[116:117]
	v_add_f64 v[118:119], v[138:139], -v[118:119]
	v_add_f64 v[136:137], v[132:133], v[120:121]
	v_add_f64 v[138:139], v[134:135], v[122:123]
	v_add_f64 v[120:121], v[132:133], -v[120:121]
	v_add_f64 v[122:123], v[134:135], -v[122:123]
	;; [unrolled: 4-line block ×4, first 2 shown]
	v_add_f64 v[144:145], v[144:145], -v[132:133]
	v_add_f64 v[146:147], v[146:147], -v[134:135]
	;; [unrolled: 1-line block ×6, first 2 shown]
	v_add_f64 v[128:129], v[132:133], v[128:129]
	v_add_f64 v[130:131], v[134:135], v[130:131]
	;; [unrolled: 1-line block ×4, first 2 shown]
	v_add_f64 v[165:166], v[124:125], -v[120:121]
	v_add_f64 v[124:125], v[116:117], -v[124:125]
	;; [unrolled: 1-line block ×4, first 2 shown]
	v_mul_f64 v[132:133], v[144:145], s[6:7]
	v_mul_f64 v[134:135], v[146:147], s[6:7]
	;; [unrolled: 1-line block ×4, first 2 shown]
	v_add_f64 v[120:121], v[108:109], v[128:129]
	v_add_f64 v[122:123], v[110:111], v[130:131]
	v_mul_f64 v[108:109], v[167:168], s[18:19]
	v_mul_f64 v[110:111], v[169:170], s[16:17]
	;; [unrolled: 1-line block ×8, first 2 shown]
	v_add_f64 v[116:117], v[155:156], v[116:117]
	v_add_f64 v[118:119], v[157:158], v[118:119]
	v_mul_f64 v[155:156], v[165:166], s[18:19]
	v_mul_f64 v[157:158], v[171:172], s[16:17]
	v_fma_f64 v[138:139], v[138:139], s[4:5], v[134:135]
	v_fma_f64 v[144:145], v[151:152], s[22:23], -v[144:145]
	v_fma_f64 v[128:129], v[128:129], s[20:21], v[120:121]
	v_fma_f64 v[130:131], v[130:131], s[20:21], v[122:123]
	v_fma_f64 v[146:147], v[153:154], s[22:23], -v[146:147]
	v_fma_f64 v[134:135], v[153:154], s[24:25], -v[134:135]
	v_fma_f64 v[153:154], v[126:127], s[26:27], v[108:109]
	v_fma_f64 v[108:109], v[171:172], s[16:17], -v[108:109]
	v_fma_f64 v[110:111], v[124:125], s[30:31], -v[110:111]
	v_mul_f64 v[185:186], v[102:103], v[50:51]
	v_mul_f64 v[194:195], v[100:101], v[50:51]
	;; [unrolled: 1-line block ×4, first 2 shown]
	v_fma_f64 v[104:105], v[104:105], v[52:53], -v[177:178]
	v_fma_f64 v[106:107], v[106:107], v[52:53], v[179:180]
	v_fma_f64 v[96:97], v[96:97], v[56:57], -v[181:182]
	v_fma_f64 v[98:99], v[98:99], v[56:57], v[183:184]
	v_fma_f64 v[136:137], v[136:137], s[4:5], v[132:133]
	v_fma_f64 v[132:133], v[151:152], s[24:25], -v[132:133]
	v_fma_f64 v[151:152], v[124:125], s[26:27], v[155:156]
	v_fma_f64 v[155:156], v[169:170], s[16:17], -v[155:156]
	v_fma_f64 v[124:125], v[126:127], s[30:31], -v[157:158]
	v_add_f64 v[157:158], v[144:145], v[128:129]
	v_add_f64 v[134:135], v[134:135], v[130:131]
	v_fma_f64 v[110:111], v[116:117], s[28:29], v[110:111]
	v_fma_f64 v[108:109], v[118:119], s[28:29], v[108:109]
	v_fma_f64 v[112:113], v[112:113], v[60:61], -v[204:205]
	v_fma_f64 v[114:115], v[114:115], v[60:61], v[206:207]
	v_fma_f64 v[100:101], v[100:101], v[48:49], -v[185:186]
	;; [unrolled: 2-line block ×3, first 2 shown]
	v_fma_f64 v[142:143], v[142:143], v[44:45], v[198:199]
	v_add_f64 v[138:139], v[138:139], v[130:131]
	v_add_f64 v[165:166], v[146:147], v[130:131]
	v_add_f64 v[132:133], v[132:133], v[128:129]
	v_fma_f64 v[169:170], v[116:117], s[28:29], v[151:152]
	v_fma_f64 v[171:172], v[118:119], s[28:29], v[124:125]
	;; [unrolled: 1-line block ×3, first 2 shown]
	v_add_f64 v[130:131], v[134:135], -v[110:111]
	v_add_f64 v[144:145], v[157:158], -v[108:109]
	v_add_f64 v[151:152], v[108:109], v[157:158]
	v_add_f64 v[157:158], v[110:111], v[134:135]
	;; [unrolled: 1-line block ×4, first 2 shown]
	v_add_f64 v[104:105], v[104:105], -v[112:113]
	v_add_f64 v[106:107], v[106:107], -v[114:115]
	v_add_f64 v[112:113], v[96:97], v[161:162]
	v_add_f64 v[114:115], v[98:99], v[163:164]
	;; [unrolled: 1-line block ×3, first 2 shown]
	v_fma_f64 v[167:168], v[118:119], s[28:29], v[153:154]
	v_add_f64 v[128:129], v[171:172], v[132:133]
	v_add_f64 v[146:147], v[116:117], v[165:166]
	v_add_f64 v[153:154], v[165:166], -v[116:117]
	v_add_f64 v[155:156], v[132:133], -v[171:172]
	;; [unrolled: 1-line block ×4, first 2 shown]
	v_add_f64 v[116:117], v[100:101], v[140:141]
	v_add_f64 v[118:119], v[102:103], v[142:143]
	v_add_f64 v[100:101], v[140:141], -v[100:101]
	v_add_f64 v[102:103], v[142:143], -v[102:103]
	v_add_f64 v[132:133], v[112:113], v[108:109]
	v_add_f64 v[134:135], v[114:115], v[110:111]
	v_add_f64 v[140:141], v[112:113], -v[108:109]
	v_add_f64 v[142:143], v[114:115], -v[110:111]
	;; [unrolled: 1-line block ×6, first 2 shown]
	v_add_f64 v[161:162], v[100:101], v[96:97]
	v_add_f64 v[163:164], v[102:103], v[98:99]
	v_add_f64 v[165:166], v[100:101], -v[96:97]
	v_add_f64 v[171:172], v[102:103], -v[98:99]
	v_add_f64 v[116:117], v[116:117], v[132:133]
	v_add_f64 v[118:119], v[118:119], v[134:135]
	v_add_f64 v[96:97], v[96:97], -v[104:105]
	v_add_f64 v[98:99], v[98:99], -v[106:107]
	;; [unrolled: 1-line block ×4, first 2 shown]
	v_add_f64 v[132:133], v[161:162], v[104:105]
	v_add_f64 v[134:135], v[163:164], v[106:107]
	;; [unrolled: 1-line block ×4, first 2 shown]
	v_mul_f64 v[104:105], v[108:109], s[6:7]
	v_mul_f64 v[106:107], v[110:111], s[6:7]
	;; [unrolled: 1-line block ×8, first 2 shown]
	v_fma_f64 v[116:117], v[116:117], s[20:21], v[92:93]
	v_fma_f64 v[118:119], v[118:119], s[20:21], v[94:95]
	;; [unrolled: 1-line block ×4, first 2 shown]
	v_fma_f64 v[108:109], v[140:141], s[22:23], -v[108:109]
	v_fma_f64 v[110:111], v[142:143], s[22:23], -v[110:111]
	;; [unrolled: 1-line block ×4, first 2 shown]
	v_fma_f64 v[140:141], v[100:101], s[26:27], v[161:162]
	v_fma_f64 v[142:143], v[102:103], s[26:27], v[163:164]
	v_fma_f64 v[161:162], v[96:97], s[16:17], -v[161:162]
	v_fma_f64 v[163:164], v[98:99], s[16:17], -v[163:164]
	;; [unrolled: 1-line block ×4, first 2 shown]
	v_add_f64 v[96:97], v[112:113], v[116:117]
	v_add_f64 v[102:103], v[114:115], v[118:119]
	;; [unrolled: 1-line block ×6, first 2 shown]
	v_fma_f64 v[104:105], v[134:135], s[28:29], v[163:164]
	v_fma_f64 v[118:119], v[132:133], s[28:29], v[161:162]
	;; [unrolled: 1-line block ×6, first 2 shown]
	v_add_f64 v[124:125], v[167:168], v[136:137]
	v_add_f64 v[126:127], v[138:139], -v[169:170]
	v_add_f64 v[161:162], v[136:137], -v[167:168]
	v_add_f64 v[163:164], v[169:170], v[138:139]
	v_add_f64 v[132:133], v[104:105], v[98:99]
	v_add_f64 v[134:135], v[112:113], -v[118:119]
	v_add_f64 v[136:137], v[100:101], -v[106:107]
	v_add_f64 v[138:139], v[116:117], v[108:109]
	v_add_f64 v[140:141], v[96:97], -v[110:111]
	v_add_f64 v[142:143], v[114:115], v[102:103]
	v_lshl_add_u32 v194, v0, 4, v191
	ds_write_b128 v194, v[120:123]
	ds_write_b128 v194, v[124:127] offset:176
	ds_write_b128 v194, v[128:131] offset:352
	;; [unrolled: 1-line block ×6, first 2 shown]
	s_and_saveexec_b64 s[4:5], vcc
	s_cbranch_execz .LBB0_5
; %bb.4:
	buffer_load_dword v1, off, s[40:43], 0 offset:16 ; 4-byte Folded Reload
	v_add_f64 v[108:109], v[108:109], -v[116:117]
	v_add_f64 v[116:117], v[102:103], -v[114:115]
	v_add_f64 v[114:115], v[110:111], v[96:97]
	v_add_f64 v[106:107], v[106:107], v[100:101]
	;; [unrolled: 1-line block ×3, first 2 shown]
	v_add_f64 v[110:111], v[98:99], -v[104:105]
	v_mul_u32_u24_e32 v0, 0x4d, v255
	s_waitcnt vmcnt(0)
	v_add_u32_sdwa v0, v0, v1 dst_sel:DWORD dst_unused:UNUSED_PAD src0_sel:DWORD src1_sel:BYTE_0
	v_lshl_add_u32 v0, v0, 4, v191
	ds_write_b128 v0, v[92:95]
	ds_write_b128 v0, v[114:117] offset:176
	ds_write_b128 v0, v[106:109] offset:352
	ds_write_b128 v0, v[110:113] offset:528
	ds_write_b128 v0, v[132:135] offset:704
	ds_write_b128 v0, v[136:139] offset:880
	ds_write_b128 v0, v[140:143] offset:1056
.LBB0_5:
	s_or_b64 exec, exec, s[4:5]
	v_mov_b32_e32 v93, s15
	s_movk_i32 s4, 0xa0
	v_mov_b32_e32 v92, s14
	v_mad_u64_u32 v[116:117], s[4:5], v189, s4, v[92:93]
	s_waitcnt lgkmcnt(0)
	s_barrier
	global_load_dwordx4 v[128:131], v[116:117], off offset:1056
	global_load_dwordx4 v[120:123], v[116:117], off offset:1072
	;; [unrolled: 1-line block ×9, first 2 shown]
	s_nop 0
	global_load_dwordx4 v[116:119], v[116:117], off offset:1200
	ds_read_b128 v[149:152], v190
	ds_read_b128 v[153:156], v190 offset:1232
	ds_read_b128 v[161:164], v190 offset:2464
	;; [unrolled: 1-line block ×10, first 2 shown]
	v_mov_b32_e32 v0, s13
	s_mov_b32 s18, 0xf8bb580b
	s_mov_b32 s4, 0x8eee2c13
	;; [unrolled: 1-line block ×22, first 2 shown]
	v_addc_co_u32_e64 v144, s[0:1], 0, v0, s[0:1]
	s_mov_b32 s29, 0x3fefac9e
	s_mov_b32 s28, s12
	s_mov_b32 s31, 0x3fe14ced
	s_mov_b32 s30, s18
	s_mov_b32 s37, 0x3fed1bb4
	s_mov_b32 s36, s4
	s_movk_i32 s0, 0x3000
	s_movk_i32 s33, 0x34f0
	s_waitcnt vmcnt(9) lgkmcnt(9)
	v_mul_f64 v[145:146], v[155:156], v[130:131]
	v_mul_f64 v[157:158], v[153:154], v[130:131]
	s_waitcnt vmcnt(8) lgkmcnt(8)
	v_mul_f64 v[185:186], v[163:164], v[122:123]
	v_mul_f64 v[207:208], v[161:162], v[122:123]
	s_waitcnt vmcnt(7) lgkmcnt(7)
	v_mul_f64 v[209:210], v[167:168], v[106:107]
	s_waitcnt vmcnt(6) lgkmcnt(6)
	;; [unrolled: 2-line block ×4, first 2 shown]
	v_mul_f64 v[229:230], v[197:198], v[94:95]
	v_mul_f64 v[231:232], v[195:196], v[94:95]
	s_waitcnt vmcnt(1) lgkmcnt(1)
	v_mul_f64 v[233:234], v[201:202], v[114:115]
	v_mul_f64 v[235:236], v[199:200], v[114:115]
	v_fma_f64 v[145:146], v[153:154], v[128:129], -v[145:146]
	v_mul_f64 v[221:222], v[179:180], v[110:111]
	v_mul_f64 v[225:226], v[183:184], v[102:103]
	s_waitcnt vmcnt(0) lgkmcnt(0)
	v_mul_f64 v[237:238], v[205:206], v[118:119]
	v_fma_f64 v[153:154], v[155:156], v[128:129], v[157:158]
	v_fma_f64 v[155:156], v[161:162], v[120:121], -v[185:186]
	v_fma_f64 v[185:186], v[195:196], v[92:93], -v[229:230]
	v_fma_f64 v[195:196], v[197:198], v[92:93], v[231:232]
	v_fma_f64 v[197:198], v[199:200], v[112:113], -v[233:234]
	v_fma_f64 v[199:200], v[201:202], v[112:113], v[235:236]
	v_add_f64 v[201:202], v[149:150], v[145:146]
	v_mul_f64 v[211:212], v[165:166], v[106:107]
	v_mul_f64 v[215:216], v[169:170], v[98:99]
	;; [unrolled: 1-line block ×6, first 2 shown]
	v_fma_f64 v[157:158], v[163:164], v[120:121], v[207:208]
	v_fma_f64 v[161:162], v[165:166], v[104:105], -v[209:210]
	v_fma_f64 v[165:166], v[169:170], v[96:97], -v[213:214]
	;; [unrolled: 1-line block ×6, first 2 shown]
	v_add_f64 v[203:204], v[151:152], v[153:154]
	v_add_f64 v[209:210], v[155:156], v[197:198]
	v_add_f64 v[213:214], v[155:156], -v[197:198]
	v_add_f64 v[155:156], v[201:202], v[155:156]
	v_fma_f64 v[163:164], v[167:168], v[104:105], v[211:212]
	v_fma_f64 v[167:168], v[171:172], v[96:97], v[215:216]
	v_add_f64 v[211:212], v[157:158], v[199:200]
	v_add_f64 v[215:216], v[157:158], -v[199:200]
	v_add_f64 v[157:158], v[203:204], v[157:158]
	v_fma_f64 v[171:172], v[175:176], v[124:125], v[219:220]
	v_fma_f64 v[175:176], v[179:180], v[108:109], v[223:224]
	v_add_f64 v[155:156], v[155:156], v[161:162]
	v_fma_f64 v[179:180], v[183:184], v[100:101], v[227:228]
	v_fma_f64 v[183:184], v[205:206], v[116:117], v[239:240]
	v_add_f64 v[205:206], v[145:146], v[181:182]
	v_add_f64 v[145:146], v[145:146], -v[181:182]
	v_add_f64 v[157:158], v[157:158], v[163:164]
	v_mul_f64 v[229:230], v[215:216], s[4:5]
	v_mul_f64 v[231:232], v[213:214], s[4:5]
	v_add_f64 v[155:156], v[155:156], v[165:166]
	v_mul_f64 v[233:234], v[215:216], s[20:21]
	v_add_f64 v[207:208], v[153:154], v[183:184]
	v_add_f64 v[153:154], v[153:154], -v[183:184]
	v_mul_f64 v[203:204], v[145:146], s[18:19]
	v_add_f64 v[157:158], v[157:158], v[167:168]
	v_mul_f64 v[219:220], v[145:146], s[4:5]
	v_mul_f64 v[223:224], v[145:146], s[12:13]
	v_add_f64 v[155:156], v[155:156], v[169:170]
	v_mul_f64 v[227:228], v[145:146], s[20:21]
	v_mul_f64 v[145:146], v[145:146], s[24:25]
	;; [unrolled: 1-line block ×7, first 2 shown]
	v_add_f64 v[157:158], v[157:158], v[171:172]
	v_add_f64 v[155:156], v[155:156], v[173:174]
	v_fma_f64 v[239:240], v[207:208], s[16:17], v[203:204]
	v_fma_f64 v[237:238], v[205:206], s[16:17], -v[201:202]
	v_fma_f64 v[201:202], v[205:206], s[16:17], v[201:202]
	v_fma_f64 v[241:242], v[205:206], s[6:7], -v[217:218]
	;; [unrolled: 2-line block ×5, first 2 shown]
	v_add_f64 v[157:158], v[157:158], v[175:176]
	v_fma_f64 v[205:206], v[205:206], s[26:27], v[153:154]
	v_add_f64 v[153:154], v[155:156], v[177:178]
	v_fma_f64 v[203:204], v[207:208], s[16:17], -v[203:204]
	v_mul_f64 v[235:236], v[213:214], s[20:21]
	v_fma_f64 v[243:244], v[207:208], s[6:7], v[219:220]
	v_fma_f64 v[219:220], v[207:208], s[6:7], -v[219:220]
	v_fma_f64 v[247:248], v[207:208], s[14:15], v[223:224]
	v_add_f64 v[155:156], v[157:158], v[179:180]
	v_fma_f64 v[223:224], v[207:208], s[14:15], -v[223:224]
	v_add_f64 v[153:154], v[153:154], v[185:186]
	v_fma_f64 v[251:252], v[207:208], s[22:23], v[227:228]
	v_fma_f64 v[227:228], v[207:208], s[22:23], -v[227:228]
	v_fma_f64 v[192:193], v[207:208], s[26:27], v[145:146]
	v_fma_f64 v[145:146], v[207:208], s[26:27], -v[145:146]
	v_fma_f64 v[207:208], v[209:210], s[6:7], -v[229:230]
	v_add_f64 v[155:156], v[155:156], v[195:196]
	v_fma_f64 v[2:3], v[209:210], s[6:7], v[229:230]
	v_add_f64 v[153:154], v[153:154], v[197:198]
	v_add_f64 v[157:158], v[149:150], v[237:238]
	;; [unrolled: 1-line block ×4, first 2 shown]
	v_fma_f64 v[0:1], v[211:212], s[6:7], v[231:232]
	v_add_f64 v[229:230], v[151:152], v[239:240]
	v_add_f64 v[155:156], v[155:156], v[199:200]
	;; [unrolled: 1-line block ×4, first 2 shown]
	v_fma_f64 v[181:182], v[211:212], s[6:7], -v[231:232]
	v_add_f64 v[239:240], v[151:152], v[243:244]
	v_add_f64 v[219:220], v[151:152], v[219:220]
	;; [unrolled: 1-line block ×8, first 2 shown]
	v_fma_f64 v[183:184], v[209:210], s[22:23], -v[233:234]
	v_fma_f64 v[231:232], v[211:212], s[22:23], v[235:236]
	v_add_f64 v[145:146], v[151:152], v[145:146]
	v_add_f64 v[151:152], v[207:208], v[157:158]
	v_add_f64 v[2:3], v[2:3], v[201:202]
	v_add_f64 v[157:158], v[181:182], v[203:204]
	v_mul_f64 v[201:202], v[215:216], s[34:35]
	v_mul_f64 v[203:204], v[213:214], s[34:35]
	v_add_f64 v[221:222], v[149:150], v[221:222]
	v_add_f64 v[0:1], v[0:1], v[229:230]
	;; [unrolled: 1-line block ×4, first 2 shown]
	v_fma_f64 v[229:230], v[209:210], s[22:23], v[233:234]
	v_fma_f64 v[231:232], v[211:212], s[22:23], -v[235:236]
	v_fma_f64 v[233:234], v[209:210], s[26:27], -v[201:202]
	v_fma_f64 v[235:236], v[211:212], s[26:27], v[203:204]
	v_fma_f64 v[201:202], v[209:210], s[26:27], v[201:202]
	v_fma_f64 v[203:204], v[211:212], s[26:27], -v[203:204]
	v_add_f64 v[217:218], v[149:150], v[217:218]
	v_add_f64 v[241:242], v[149:150], v[245:246]
	;; [unrolled: 1-line block ×6, first 2 shown]
	v_mul_f64 v[205:206], v[215:216], s[28:29]
	v_mul_f64 v[207:208], v[213:214], s[28:29]
	v_add_f64 v[201:202], v[201:202], v[221:222]
	v_add_f64 v[203:204], v[203:204], v[223:224]
	v_add_f64 v[221:222], v[163:164], -v[195:196]
	v_add_f64 v[223:224], v[161:162], -v[185:186]
	v_mul_f64 v[215:216], v[215:216], s[30:31]
	v_add_f64 v[217:218], v[229:230], v[217:218]
	v_fma_f64 v[237:238], v[209:210], s[14:15], -v[205:206]
	v_fma_f64 v[239:240], v[211:212], s[14:15], v[207:208]
	v_add_f64 v[229:230], v[233:234], v[241:242]
	v_mul_f64 v[213:214], v[213:214], s[30:31]
	v_fma_f64 v[205:206], v[209:210], s[14:15], v[205:206]
	v_fma_f64 v[207:208], v[211:212], s[14:15], -v[207:208]
	v_add_f64 v[161:162], v[161:162], v[185:186]
	v_add_f64 v[163:164], v[163:164], v[195:196]
	v_mul_f64 v[185:186], v[221:222], s[12:13]
	v_mul_f64 v[195:196], v[223:224], s[12:13]
	v_fma_f64 v[233:234], v[209:210], s[16:17], -v[215:216]
	v_add_f64 v[219:220], v[231:232], v[219:220]
	v_add_f64 v[231:232], v[235:236], v[243:244]
	v_fma_f64 v[235:236], v[211:212], s[16:17], v[213:214]
	v_add_f64 v[205:206], v[205:206], v[225:226]
	v_add_f64 v[207:208], v[207:208], v[227:228]
	v_fma_f64 v[209:210], v[209:210], s[16:17], v[215:216]
	v_fma_f64 v[211:212], v[211:212], s[16:17], -v[213:214]
	v_fma_f64 v[213:214], v[161:162], s[14:15], -v[185:186]
	v_fma_f64 v[215:216], v[163:164], s[14:15], v[195:196]
	v_add_f64 v[225:226], v[233:234], v[245:246]
	v_mul_f64 v[227:228], v[221:222], s[34:35]
	v_mul_f64 v[233:234], v[223:224], s[34:35]
	v_fma_f64 v[185:186], v[161:162], s[14:15], v[185:186]
	v_fma_f64 v[195:196], v[163:164], s[14:15], -v[195:196]
	v_add_f64 v[149:150], v[209:210], v[149:150]
	v_add_f64 v[145:146], v[211:212], v[145:146]
	;; [unrolled: 1-line block ×3, first 2 shown]
	v_mul_f64 v[213:214], v[221:222], s[36:37]
	v_fma_f64 v[209:210], v[161:162], s[26:27], -v[227:228]
	v_fma_f64 v[211:212], v[163:164], s[26:27], v[233:234]
	v_add_f64 v[2:3], v[185:186], v[2:3]
	v_add_f64 v[157:158], v[195:196], v[157:158]
	v_fma_f64 v[185:186], v[161:162], s[26:27], v[227:228]
	v_fma_f64 v[195:196], v[163:164], s[26:27], -v[233:234]
	v_mul_f64 v[227:228], v[221:222], s[18:19]
	v_mul_f64 v[233:234], v[223:224], s[18:19]
	v_add_f64 v[197:198], v[237:238], v[197:198]
	v_add_f64 v[199:200], v[239:240], v[199:200]
	;; [unrolled: 1-line block ×3, first 2 shown]
	v_mul_f64 v[215:216], v[223:224], s[36:37]
	v_add_f64 v[181:182], v[209:210], v[181:182]
	v_fma_f64 v[209:210], v[161:162], s[6:7], -v[213:214]
	v_fma_f64 v[213:214], v[161:162], s[6:7], v[213:214]
	v_add_f64 v[185:186], v[185:186], v[217:218]
	v_add_f64 v[195:196], v[195:196], v[219:220]
	v_fma_f64 v[217:218], v[161:162], s[16:17], -v[227:228]
	v_fma_f64 v[219:220], v[163:164], s[16:17], v[233:234]
	v_add_f64 v[183:184], v[211:212], v[183:184]
	v_fma_f64 v[211:212], v[163:164], s[6:7], v[215:216]
	v_fma_f64 v[215:216], v[163:164], s[6:7], -v[215:216]
	v_add_f64 v[201:202], v[213:214], v[201:202]
	v_mul_f64 v[213:214], v[221:222], s[20:21]
	v_fma_f64 v[221:222], v[161:162], s[16:17], v[227:228]
	v_add_f64 v[197:198], v[217:218], v[197:198]
	v_add_f64 v[199:200], v[219:220], v[199:200]
	v_add_f64 v[217:218], v[167:168], -v[179:180]
	v_add_f64 v[219:220], v[165:166], -v[177:178]
	v_add_f64 v[203:204], v[215:216], v[203:204]
	v_mul_f64 v[215:216], v[223:224], s[20:21]
	v_fma_f64 v[223:224], v[163:164], s[16:17], -v[233:234]
	v_fma_f64 v[227:228], v[161:162], s[22:23], -v[213:214]
	v_add_f64 v[165:166], v[165:166], v[177:178]
	v_add_f64 v[167:168], v[167:168], v[179:180]
	v_mul_f64 v[177:178], v[217:218], s[20:21]
	v_mul_f64 v[179:180], v[219:220], s[20:21]
	v_add_f64 v[205:206], v[221:222], v[205:206]
	v_add_f64 v[209:210], v[209:210], v[229:230]
	;; [unrolled: 1-line block ×4, first 2 shown]
	v_fma_f64 v[229:230], v[163:164], s[22:23], v[215:216]
	v_fma_f64 v[161:162], v[161:162], s[22:23], v[213:214]
	v_fma_f64 v[223:224], v[165:166], s[22:23], -v[177:178]
	v_fma_f64 v[225:226], v[167:168], s[22:23], v[179:180]
	v_fma_f64 v[177:178], v[165:166], s[22:23], v[177:178]
	v_fma_f64 v[179:180], v[167:168], s[22:23], -v[179:180]
	v_fma_f64 v[163:164], v[163:164], s[22:23], -v[215:216]
	v_mul_f64 v[213:214], v[217:218], s[28:29]
	v_mul_f64 v[215:216], v[219:220], s[28:29]
	v_add_f64 v[149:150], v[161:162], v[149:150]
	v_add_f64 v[151:152], v[223:224], v[151:152]
	;; [unrolled: 1-line block ×5, first 2 shown]
	v_mul_f64 v[177:178], v[217:218], s[18:19]
	v_mul_f64 v[179:180], v[219:220], s[18:19]
	v_add_f64 v[145:146], v[163:164], v[145:146]
	v_fma_f64 v[161:162], v[165:166], s[14:15], -v[213:214]
	v_fma_f64 v[163:164], v[167:168], s[14:15], v[215:216]
	v_fma_f64 v[213:214], v[165:166], s[14:15], v[213:214]
	v_fma_f64 v[215:216], v[167:168], s[14:15], -v[215:216]
	v_add_f64 v[192:193], v[235:236], v[192:193]
	v_fma_f64 v[223:224], v[165:166], s[16:17], -v[177:178]
	v_fma_f64 v[225:226], v[167:168], s[16:17], v[179:180]
	v_fma_f64 v[177:178], v[165:166], s[16:17], v[177:178]
	v_fma_f64 v[179:180], v[167:168], s[16:17], -v[179:180]
	v_add_f64 v[181:182], v[161:162], v[181:182]
	v_add_f64 v[183:184], v[163:164], v[183:184]
	v_mul_f64 v[161:162], v[217:218], s[24:25]
	v_mul_f64 v[163:164], v[219:220], s[24:25]
	v_add_f64 v[185:186], v[213:214], v[185:186]
	v_add_f64 v[195:196], v[215:216], v[195:196]
	;; [unrolled: 1-line block ×4, first 2 shown]
	v_add_f64 v[201:202], v[171:172], -v[175:176]
	v_add_f64 v[203:204], v[169:170], -v[173:174]
	v_mul_f64 v[213:214], v[217:218], s[36:37]
	v_mul_f64 v[215:216], v[219:220], s[36:37]
	v_add_f64 v[192:193], v[229:230], v[192:193]
	v_fma_f64 v[227:228], v[165:166], s[26:27], -v[161:162]
	v_fma_f64 v[229:230], v[167:168], s[26:27], v[163:164]
	v_fma_f64 v[161:162], v[165:166], s[26:27], v[161:162]
	v_fma_f64 v[163:164], v[167:168], s[26:27], -v[163:164]
	v_add_f64 v[217:218], v[169:170], v[173:174]
	v_add_f64 v[219:220], v[171:172], v[175:176]
	v_mul_f64 v[169:170], v[201:202], s[24:25]
	v_mul_f64 v[171:172], v[203:204], s[24:25]
	v_fma_f64 v[173:174], v[165:166], s[6:7], -v[213:214]
	v_fma_f64 v[175:176], v[167:168], s[6:7], v[215:216]
	v_add_f64 v[205:206], v[161:162], v[205:206]
	v_add_f64 v[207:208], v[163:164], v[207:208]
	v_fma_f64 v[161:162], v[165:166], s[6:7], v[213:214]
	v_fma_f64 v[163:164], v[167:168], s[6:7], -v[215:216]
	v_fma_f64 v[165:166], v[217:218], s[26:27], -v[169:170]
	v_fma_f64 v[167:168], v[219:220], s[26:27], v[171:172]
	v_add_f64 v[213:214], v[173:174], v[221:222]
	v_add_f64 v[192:193], v[175:176], v[192:193]
	v_mul_f64 v[173:174], v[201:202], s[30:31]
	v_mul_f64 v[175:176], v[203:204], s[30:31]
	v_add_f64 v[215:216], v[161:162], v[149:150]
	v_mul_f64 v[221:222], v[201:202], s[20:21]
	v_add_f64 v[149:150], v[165:166], v[151:152]
	v_add_f64 v[151:152], v[167:168], v[0:1]
	v_fma_f64 v[0:1], v[217:218], s[26:27], v[169:170]
	v_add_f64 v[211:212], v[211:212], v[231:232]
	v_add_f64 v[145:146], v[163:164], v[145:146]
	v_fma_f64 v[163:164], v[219:220], s[26:27], -v[171:172]
	v_fma_f64 v[165:166], v[217:218], s[16:17], -v[173:174]
	v_fma_f64 v[167:168], v[219:220], s[16:17], v[175:176]
	v_fma_f64 v[169:170], v[217:218], s[16:17], v[173:174]
	v_mul_f64 v[173:174], v[203:204], s[20:21]
	v_add_f64 v[209:210], v[223:224], v[209:210]
	v_fma_f64 v[171:172], v[219:220], s[16:17], -v[175:176]
	v_add_f64 v[161:162], v[0:1], v[2:3]
	v_fma_f64 v[0:1], v[217:218], s[22:23], -v[221:222]
	v_add_f64 v[211:212], v[225:226], v[211:212]
	v_add_f64 v[163:164], v[163:164], v[157:158]
	;; [unrolled: 1-line block ×4, first 2 shown]
	v_fma_f64 v[2:3], v[219:220], s[22:23], v[173:174]
	v_fma_f64 v[157:158], v[217:218], s[22:23], v[221:222]
	v_mul_f64 v[183:184], v[201:202], s[36:37]
	v_mul_f64 v[185:186], v[203:204], s[36:37]
	v_add_f64 v[165:166], v[165:166], v[181:182]
	v_add_f64 v[171:172], v[171:172], v[195:196]
	v_fma_f64 v[181:182], v[219:220], s[22:23], -v[173:174]
	v_add_f64 v[173:174], v[0:1], v[209:210]
	v_mul_f64 v[0:1], v[201:202], s[12:13]
	v_mul_f64 v[195:196], v[203:204], s[12:13]
	v_add_f64 v[197:198], v[227:228], v[197:198]
	v_add_f64 v[199:200], v[229:230], v[199:200]
	;; [unrolled: 1-line block ×4, first 2 shown]
	v_fma_f64 v[2:3], v[217:218], s[6:7], -v[183:184]
	v_fma_f64 v[157:158], v[219:220], s[6:7], v[185:186]
	v_fma_f64 v[201:202], v[217:218], s[6:7], v[183:184]
	v_fma_f64 v[203:204], v[217:218], s[14:15], -v[0:1]
	v_fma_f64 v[209:210], v[219:220], s[14:15], v[195:196]
	v_fma_f64 v[0:1], v[217:218], s[14:15], v[0:1]
	v_fma_f64 v[211:212], v[219:220], s[14:15], -v[195:196]
	v_fma_f64 v[185:186], v[219:220], s[6:7], -v[185:186]
	v_add_f64 v[179:180], v[181:182], v[179:180]
	v_add_f64 v[181:182], v[2:3], v[197:198]
	;; [unrolled: 1-line block ×8, first 2 shown]
	v_add_co_u32_e64 v0, s[0:1], s0, v148
	v_add_f64 v[197:198], v[185:186], v[207:208]
	v_addc_co_u32_e64 v1, s[0:1], 0, v144, s[0:1]
	ds_write_b128 v190, v[153:156]
	ds_write_b128 v190, v[149:152] offset:1232
	ds_write_b128 v190, v[165:168] offset:2464
	;; [unrolled: 1-line block ×10, first 2 shown]
	s_waitcnt lgkmcnt(0)
	s_barrier
	global_load_dwordx4 v[149:152], v[0:1], off offset:1264
	v_add_co_u32_e64 v0, s[0:1], s33, v148
	v_addc_co_u32_e64 v1, s[0:1], 0, v144, s[0:1]
	global_load_dwordx4 v[153:156], v[0:1], off offset:1232
	global_load_dwordx4 v[161:164], v[0:1], off offset:2464
	;; [unrolled: 1-line block ×3, first 2 shown]
	s_movk_i32 s0, 0x4000
	v_add_co_u32_e64 v0, s[0:1], s0, v148
	v_addc_co_u32_e64 v1, s[0:1], 0, v144, s[0:1]
	global_load_dwordx4 v[169:172], v[0:1], off offset:2096
	global_load_dwordx4 v[173:176], v[0:1], off offset:3328
	s_movk_i32 s0, 0x5000
	v_add_co_u32_e64 v0, s[0:1], s0, v148
	v_addc_co_u32_e64 v1, s[0:1], 0, v144, s[0:1]
	global_load_dwordx4 v[177:180], v[0:1], off offset:464
	global_load_dwordx4 v[181:184], v[0:1], off offset:1696
	;; [unrolled: 1-line block ×3, first 2 shown]
	s_movk_i32 s0, 0x6000
	v_add_co_u32_e64 v0, s[0:1], s0, v148
	v_addc_co_u32_e64 v1, s[0:1], 0, v144, s[0:1]
	global_load_dwordx4 v[144:147], v[0:1], off offset:64
	global_load_dwordx4 v[199:202], v[0:1], off offset:1296
	ds_read_b128 v[203:206], v190
	ds_read_b128 v[207:210], v190 offset:1232
	ds_read_b128 v[211:214], v190 offset:2464
	s_mov_b32 s1, 0x3fe82f19
	s_mov_b32 s0, s20
	s_waitcnt vmcnt(10) lgkmcnt(2)
	v_mul_f64 v[0:1], v[205:206], v[151:152]
	v_mul_f64 v[2:3], v[203:204], v[151:152]
	s_waitcnt vmcnt(9) lgkmcnt(1)
	v_mul_f64 v[151:152], v[209:210], v[155:156]
	v_mul_f64 v[185:186], v[207:208], v[155:156]
	ds_read_b128 v[155:158], v190 offset:3696
	s_waitcnt vmcnt(8) lgkmcnt(1)
	v_mul_f64 v[192:193], v[213:214], v[163:164]
	v_mul_f64 v[163:164], v[211:212], v[163:164]
	v_fma_f64 v[203:204], v[203:204], v[149:150], -v[0:1]
	v_fma_f64 v[205:206], v[205:206], v[149:150], v[2:3]
	s_waitcnt vmcnt(7) lgkmcnt(0)
	v_mul_f64 v[0:1], v[157:158], v[167:168]
	v_fma_f64 v[148:149], v[207:208], v[153:154], -v[151:152]
	v_fma_f64 v[150:151], v[209:210], v[153:154], v[185:186]
	ds_write_b128 v190, v[203:206]
	ds_write_b128 v190, v[148:151] offset:1232
	ds_read_b128 v[148:151], v190 offset:4928
	v_fma_f64 v[207:208], v[211:212], v[161:162], -v[192:193]
	v_fma_f64 v[209:210], v[213:214], v[161:162], v[163:164]
	ds_read_b128 v[161:164], v190 offset:6160
	v_mul_f64 v[2:3], v[155:156], v[167:168]
	s_waitcnt vmcnt(6) lgkmcnt(1)
	v_mul_f64 v[167:168], v[150:151], v[171:172]
	ds_read_b128 v[203:206], v190 offset:7392
	v_mul_f64 v[171:172], v[148:149], v[171:172]
	s_waitcnt vmcnt(5) lgkmcnt(1)
	v_mul_f64 v[185:186], v[163:164], v[175:176]
	v_mul_f64 v[175:176], v[161:162], v[175:176]
	ds_write_b128 v190, v[207:210] offset:2464
	ds_read_b128 v[207:210], v190 offset:8624
	s_waitcnt vmcnt(4) lgkmcnt(2)
	v_mul_f64 v[192:193], v[205:206], v[179:180]
	v_fma_f64 v[152:153], v[155:156], v[165:166], -v[0:1]
	v_fma_f64 v[154:155], v[157:158], v[165:166], v[2:3]
	v_fma_f64 v[148:149], v[148:149], v[169:170], -v[167:168]
	ds_read_b128 v[165:168], v190 offset:9856
	v_fma_f64 v[150:151], v[150:151], v[169:170], v[171:172]
	ds_read_b128 v[169:172], v190 offset:11088
	v_fma_f64 v[156:157], v[161:162], v[173:174], -v[185:186]
	v_fma_f64 v[158:159], v[163:164], v[173:174], v[175:176]
	ds_read_b128 v[173:176], v190 offset:12320
	v_mul_f64 v[179:180], v[203:204], v[179:180]
	s_waitcnt vmcnt(3) lgkmcnt(3)
	v_mul_f64 v[0:1], v[209:210], v[183:184]
	v_mul_f64 v[2:3], v[207:208], v[183:184]
	s_waitcnt vmcnt(2) lgkmcnt(2)
	v_mul_f64 v[183:184], v[167:168], v[197:198]
	v_mul_f64 v[185:186], v[165:166], v[197:198]
	v_fma_f64 v[161:162], v[203:204], v[177:178], -v[192:193]
	s_waitcnt vmcnt(1) lgkmcnt(1)
	v_mul_f64 v[192:193], v[171:172], v[146:147]
	v_mul_f64 v[146:147], v[169:170], v[146:147]
	s_waitcnt vmcnt(0) lgkmcnt(0)
	v_mul_f64 v[197:198], v[175:176], v[201:202]
	v_mul_f64 v[201:202], v[173:174], v[201:202]
	v_fma_f64 v[163:164], v[205:206], v[177:178], v[179:180]
	v_fma_f64 v[177:178], v[207:208], v[181:182], -v[0:1]
	v_fma_f64 v[179:180], v[209:210], v[181:182], v[2:3]
	v_fma_f64 v[165:166], v[165:166], v[195:196], -v[183:184]
	;; [unrolled: 2-line block ×4, first 2 shown]
	v_fma_f64 v[146:147], v[175:176], v[199:200], v[201:202]
	ds_write_b128 v190, v[152:155] offset:3696
	ds_write_b128 v190, v[148:151] offset:4928
	;; [unrolled: 1-line block ×8, first 2 shown]
	s_waitcnt lgkmcnt(0)
	s_barrier
	ds_read_b128 v[144:147], v190
	ds_read_b128 v[148:151], v190 offset:1232
	ds_read_b128 v[152:155], v190 offset:2464
	;; [unrolled: 1-line block ×8, first 2 shown]
	s_waitcnt lgkmcnt(7)
	v_add_f64 v[0:1], v[144:145], v[148:149]
	v_add_f64 v[2:3], v[146:147], v[150:151]
	ds_read_b128 v[181:184], v190 offset:9856
	ds_read_b128 v[195:198], v190 offset:11088
	s_waitcnt lgkmcnt(2)
	v_add_f64 v[185:186], v[150:151], -v[179:180]
	v_add_f64 v[150:151], v[150:151], v[179:180]
	v_add_f64 v[192:193], v[148:149], v[177:178]
	v_add_f64 v[148:149], v[148:149], -v[177:178]
	v_add_f64 v[0:1], v[0:1], v[152:153]
	v_add_f64 v[2:3], v[2:3], v[154:155]
	s_waitcnt lgkmcnt(0)
	v_add_f64 v[227:228], v[154:155], -v[197:198]
	v_add_f64 v[154:155], v[154:155], v[197:198]
	v_mul_f64 v[219:220], v[185:186], s[20:21]
	v_mul_f64 v[221:222], v[150:151], s[22:23]
	;; [unrolled: 1-line block ×4, first 2 shown]
	v_add_f64 v[0:1], v[0:1], v[156:157]
	v_add_f64 v[2:3], v[2:3], v[158:159]
	v_mul_f64 v[207:208], v[185:186], s[4:5]
	v_mul_f64 v[209:210], v[150:151], s[6:7]
	;; [unrolled: 1-line block ×4, first 2 shown]
	v_fma_f64 v[223:224], v[192:193], s[22:23], v[219:220]
	v_fma_f64 v[225:226], v[148:149], s[0:1], v[221:222]
	v_add_f64 v[0:1], v[0:1], v[161:162]
	v_add_f64 v[2:3], v[2:3], v[163:164]
	v_fma_f64 v[219:220], v[192:193], s[22:23], -v[219:220]
	v_fma_f64 v[221:222], v[148:149], s[20:21], v[221:222]
	v_mul_f64 v[185:186], v[185:186], s[24:25]
	v_mul_f64 v[150:151], v[150:151], s[26:27]
	v_fma_f64 v[203:204], v[192:193], s[16:17], v[199:200]
	v_fma_f64 v[205:206], v[148:149], s[30:31], v[201:202]
	v_add_f64 v[0:1], v[0:1], v[165:166]
	v_add_f64 v[2:3], v[2:3], v[167:168]
	;; [unrolled: 1-line block ×3, first 2 shown]
	v_add_f64 v[152:153], v[152:153], -v[195:196]
	v_mul_f64 v[233:234], v[154:155], s[6:7]
	v_fma_f64 v[229:230], v[148:149], s[34:35], v[150:151]
	v_fma_f64 v[201:202], v[148:149], s[18:19], v[201:202]
	;; [unrolled: 1-line block ×3, first 2 shown]
	v_add_f64 v[0:1], v[0:1], v[169:170]
	v_add_f64 v[2:3], v[2:3], v[171:172]
	v_fma_f64 v[217:218], v[148:149], s[28:29], v[213:214]
	v_fma_f64 v[211:212], v[192:193], s[14:15], -v[211:212]
	v_fma_f64 v[213:214], v[148:149], s[12:13], v[213:214]
	v_fma_f64 v[237:238], v[152:153], s[36:37], v[233:234]
	v_add_f64 v[201:202], v[146:147], v[201:202]
	v_add_f64 v[215:216], v[144:145], v[215:216]
	;; [unrolled: 1-line block ×11, first 2 shown]
	s_barrier
	v_add_f64 v[0:1], v[0:1], v[195:196]
	v_add_f64 v[2:3], v[2:3], v[197:198]
	;; [unrolled: 1-line block ×4, first 2 shown]
	v_fma_f64 v[221:222], v[192:193], s[26:27], v[185:186]
	v_mul_f64 v[195:196], v[227:228], s[4:5]
	v_fma_f64 v[185:186], v[192:193], s[26:27], -v[185:186]
	v_add_f64 v[177:178], v[0:1], v[177:178]
	v_add_f64 v[179:180], v[2:3], v[179:180]
	v_fma_f64 v[0:1], v[192:193], s[16:17], -v[199:200]
	v_add_f64 v[2:3], v[144:145], v[203:204]
	v_add_f64 v[199:200], v[146:147], v[205:206]
	v_fma_f64 v[203:204], v[192:193], s[6:7], v[207:208]
	v_fma_f64 v[205:206], v[148:149], s[36:37], v[209:210]
	v_fma_f64 v[207:208], v[192:193], s[6:7], -v[207:208]
	v_fma_f64 v[209:210], v[148:149], s[4:5], v[209:210]
	v_fma_f64 v[148:149], v[148:149], s[24:25], v[150:151]
	v_add_f64 v[150:151], v[144:145], v[221:222]
	v_add_f64 v[192:193], v[146:147], v[229:230]
	v_mul_f64 v[221:222], v[227:228], s[20:21]
	v_mul_f64 v[229:230], v[154:155], s[22:23]
	v_add_f64 v[0:1], v[144:145], v[0:1]
	v_add_f64 v[203:204], v[144:145], v[203:204]
	;; [unrolled: 1-line block ×5, first 2 shown]
	v_fma_f64 v[235:236], v[231:232], s[6:7], v[195:196]
	v_add_f64 v[144:145], v[144:145], v[185:186]
	v_add_f64 v[146:147], v[146:147], v[148:149]
	v_fma_f64 v[148:149], v[231:232], s[6:7], -v[195:196]
	v_fma_f64 v[185:186], v[152:153], s[4:5], v[233:234]
	v_fma_f64 v[195:196], v[231:232], s[22:23], v[221:222]
	;; [unrolled: 1-line block ×3, first 2 shown]
	v_add_f64 v[199:200], v[237:238], v[199:200]
	v_mul_f64 v[237:238], v[154:155], s[26:27]
	v_add_f64 v[2:3], v[235:236], v[2:3]
	v_mul_f64 v[235:236], v[227:228], s[34:35]
	v_add_f64 v[0:1], v[148:149], v[0:1]
	v_add_f64 v[148:149], v[185:186], v[201:202]
	;; [unrolled: 1-line block ×4, first 2 shown]
	v_fma_f64 v[201:202], v[231:232], s[22:23], -v[221:222]
	v_fma_f64 v[203:204], v[152:153], s[20:21], v[229:230]
	v_fma_f64 v[221:222], v[152:153], s[24:25], v[237:238]
	v_mul_f64 v[229:230], v[227:228], s[28:29]
	v_mul_f64 v[233:234], v[154:155], s[14:15]
	v_fma_f64 v[205:206], v[231:232], s[26:27], v[235:236]
	v_mul_f64 v[154:155], v[154:155], s[16:17]
	v_mul_f64 v[227:228], v[227:228], s[30:31]
	v_add_f64 v[201:202], v[201:202], v[207:208]
	v_add_f64 v[203:204], v[203:204], v[209:210]
	;; [unrolled: 1-line block ×3, first 2 shown]
	v_fma_f64 v[209:210], v[231:232], s[14:15], v[229:230]
	v_fma_f64 v[217:218], v[231:232], s[14:15], -v[229:230]
	v_fma_f64 v[221:222], v[152:153], s[28:29], v[233:234]
	v_add_f64 v[205:206], v[205:206], v[215:216]
	v_fma_f64 v[215:216], v[152:153], s[12:13], v[233:234]
	v_fma_f64 v[237:238], v[152:153], s[34:35], v[237:238]
	v_fma_f64 v[235:236], v[231:232], s[26:27], -v[235:236]
	v_add_f64 v[209:210], v[209:210], v[223:224]
	v_add_f64 v[223:224], v[158:159], -v[183:184]
	v_add_f64 v[158:159], v[158:159], v[183:184]
	v_add_f64 v[183:184], v[217:218], v[197:198]
	;; [unrolled: 1-line block ×3, first 2 shown]
	v_fma_f64 v[219:220], v[152:153], s[18:19], v[154:155]
	v_add_f64 v[215:216], v[215:216], v[225:226]
	v_fma_f64 v[217:218], v[231:232], s[16:17], v[227:228]
	v_add_f64 v[221:222], v[156:157], v[181:182]
	v_add_f64 v[156:157], v[156:157], -v[181:182]
	v_mul_f64 v[181:182], v[223:224], s[12:13]
	v_mul_f64 v[225:226], v[158:159], s[14:15]
	v_fma_f64 v[152:153], v[152:153], s[30:31], v[154:155]
	v_add_f64 v[154:155], v[219:220], v[192:193]
	v_mul_f64 v[192:193], v[223:224], s[34:35]
	v_fma_f64 v[227:228], v[231:232], s[16:17], -v[227:228]
	v_add_f64 v[150:151], v[217:218], v[150:151]
	v_mul_f64 v[217:218], v[158:159], s[26:27]
	v_fma_f64 v[219:220], v[221:222], s[14:15], v[181:182]
	v_fma_f64 v[229:230], v[156:157], s[28:29], v[225:226]
	v_add_f64 v[146:147], v[152:153], v[146:147]
	v_fma_f64 v[152:153], v[221:222], s[14:15], -v[181:182]
	v_fma_f64 v[181:182], v[156:157], s[12:13], v[225:226]
	v_fma_f64 v[225:226], v[221:222], s[26:27], v[192:193]
	v_add_f64 v[144:145], v[227:228], v[144:145]
	v_fma_f64 v[227:228], v[156:157], s[24:25], v[217:218]
	v_add_f64 v[2:3], v[219:220], v[2:3]
	v_add_f64 v[199:200], v[229:230], v[199:200]
	v_mul_f64 v[219:220], v[223:224], s[36:37]
	v_mul_f64 v[229:230], v[158:159], s[6:7]
	v_add_f64 v[0:1], v[152:153], v[0:1]
	v_add_f64 v[152:153], v[225:226], v[185:186]
	v_fma_f64 v[185:186], v[221:222], s[26:27], -v[192:193]
	v_fma_f64 v[192:193], v[156:157], s[34:35], v[217:218]
	v_mul_f64 v[225:226], v[223:224], s[18:19]
	v_add_f64 v[211:212], v[235:236], v[211:212]
	v_add_f64 v[213:214], v[237:238], v[213:214]
	;; [unrolled: 1-line block ×4, first 2 shown]
	v_fma_f64 v[195:196], v[221:222], s[6:7], v[219:220]
	v_fma_f64 v[217:218], v[156:157], s[4:5], v[229:230]
	v_mul_f64 v[227:228], v[158:159], s[16:17]
	v_fma_f64 v[219:220], v[221:222], s[6:7], -v[219:220]
	v_fma_f64 v[229:230], v[156:157], s[36:37], v[229:230]
	v_add_f64 v[192:193], v[192:193], v[203:204]
	v_fma_f64 v[203:204], v[221:222], s[16:17], v[225:226]
	v_add_f64 v[185:186], v[185:186], v[201:202]
	v_add_f64 v[195:196], v[195:196], v[205:206]
	;; [unrolled: 1-line block ×3, first 2 shown]
	v_fma_f64 v[205:206], v[156:157], s[30:31], v[227:228]
	v_add_f64 v[207:208], v[219:220], v[211:212]
	v_add_f64 v[211:212], v[229:230], v[213:214]
	v_mul_f64 v[213:214], v[223:224], s[20:21]
	v_mul_f64 v[158:159], v[158:159], s[22:23]
	v_fma_f64 v[217:218], v[221:222], s[16:17], -v[225:226]
	v_fma_f64 v[219:220], v[156:157], s[18:19], v[227:228]
	v_add_f64 v[203:204], v[203:204], v[209:210]
	v_add_f64 v[209:210], v[163:164], -v[175:176]
	v_add_f64 v[163:164], v[163:164], v[175:176]
	v_add_f64 v[205:206], v[205:206], v[215:216]
	v_fma_f64 v[175:176], v[221:222], s[22:23], v[213:214]
	v_fma_f64 v[215:216], v[156:157], s[0:1], v[158:159]
	v_add_f64 v[183:184], v[217:218], v[183:184]
	v_add_f64 v[197:198], v[219:220], v[197:198]
	;; [unrolled: 1-line block ×3, first 2 shown]
	v_add_f64 v[161:162], v[161:162], -v[173:174]
	v_mul_f64 v[173:174], v[209:210], s[20:21]
	v_mul_f64 v[219:220], v[163:164], s[22:23]
	v_add_f64 v[150:151], v[175:176], v[150:151]
	v_add_f64 v[154:155], v[215:216], v[154:155]
	v_fma_f64 v[175:176], v[221:222], s[22:23], -v[213:214]
	v_fma_f64 v[156:157], v[156:157], s[20:21], v[158:159]
	v_mul_f64 v[158:159], v[209:210], s[28:29]
	v_mul_f64 v[213:214], v[163:164], s[14:15]
	v_fma_f64 v[215:216], v[217:218], s[22:23], v[173:174]
	v_fma_f64 v[221:222], v[161:162], s[0:1], v[219:220]
	v_fma_f64 v[173:174], v[217:218], s[22:23], -v[173:174]
	v_fma_f64 v[219:220], v[161:162], s[20:21], v[219:220]
	v_add_f64 v[144:145], v[175:176], v[144:145]
	v_add_f64 v[146:147], v[156:157], v[146:147]
	v_fma_f64 v[156:157], v[217:218], s[14:15], v[158:159]
	v_fma_f64 v[175:176], v[161:162], s[12:13], v[213:214]
	v_add_f64 v[2:3], v[215:216], v[2:3]
	v_mul_f64 v[215:216], v[163:164], s[16:17]
	v_add_f64 v[0:1], v[173:174], v[0:1]
	v_add_f64 v[173:174], v[219:220], v[148:149]
	v_mul_f64 v[148:149], v[209:210], s[18:19]
	v_add_f64 v[199:200], v[221:222], v[199:200]
	v_fma_f64 v[158:159], v[217:218], s[14:15], -v[158:159]
	v_fma_f64 v[213:214], v[161:162], s[28:29], v[213:214]
	v_add_f64 v[152:153], v[156:157], v[152:153]
	v_fma_f64 v[221:222], v[161:162], s[30:31], v[215:216]
	v_fma_f64 v[215:216], v[161:162], s[18:19], v[215:216]
	v_add_f64 v[156:157], v[175:176], v[181:182]
	v_fma_f64 v[219:220], v[217:218], s[16:17], v[148:149]
	v_fma_f64 v[148:149], v[217:218], s[16:17], -v[148:149]
	v_mul_f64 v[175:176], v[209:210], s[24:25]
	v_mul_f64 v[181:182], v[163:164], s[26:27]
	v_add_f64 v[158:159], v[158:159], v[185:186]
	v_add_f64 v[185:186], v[213:214], v[192:193]
	;; [unrolled: 1-line block ×3, first 2 shown]
	v_mul_f64 v[163:164], v[163:164], s[6:7]
	v_add_f64 v[192:193], v[219:220], v[195:196]
	v_add_f64 v[195:196], v[221:222], v[201:202]
	;; [unrolled: 1-line block ×4, first 2 shown]
	v_add_f64 v[211:212], v[167:168], -v[171:172]
	v_mul_f64 v[148:149], v[209:210], s[36:37]
	v_fma_f64 v[223:224], v[217:218], s[26:27], v[175:176]
	v_fma_f64 v[225:226], v[161:162], s[34:35], v[181:182]
	v_fma_f64 v[167:168], v[217:218], s[26:27], -v[175:176]
	v_fma_f64 v[171:172], v[161:162], s[24:25], v[181:182]
	v_add_f64 v[175:176], v[165:166], v[169:170]
	v_add_f64 v[181:182], v[165:166], -v[169:170]
	v_mul_f64 v[165:166], v[211:212], s[24:25]
	v_mul_f64 v[169:170], v[213:214], s[26:27]
	v_fma_f64 v[209:210], v[217:218], s[6:7], v[148:149]
	v_fma_f64 v[215:216], v[161:162], s[4:5], v[163:164]
	v_fma_f64 v[148:149], v[217:218], s[6:7], -v[148:149]
	v_fma_f64 v[161:162], v[161:162], s[36:37], v[163:164]
	v_add_f64 v[183:184], v[167:168], v[183:184]
	v_add_f64 v[197:198], v[171:172], v[197:198]
	v_fma_f64 v[163:164], v[175:176], s[26:27], v[165:166]
	v_fma_f64 v[167:168], v[181:182], s[34:35], v[169:170]
	v_add_f64 v[209:210], v[209:210], v[150:151]
	v_add_f64 v[215:216], v[215:216], v[154:155]
	v_mul_f64 v[150:151], v[211:212], s[30:31]
	v_mul_f64 v[154:155], v[213:214], s[16:17]
	v_add_f64 v[217:218], v[148:149], v[144:145]
	v_add_f64 v[219:220], v[161:162], v[146:147]
	;; [unrolled: 1-line block ×3, first 2 shown]
	v_fma_f64 v[2:3], v[175:176], s[26:27], -v[165:166]
	v_fma_f64 v[144:145], v[181:182], s[24:25], v[169:170]
	v_mul_f64 v[169:170], v[211:212], s[20:21]
	v_mul_f64 v[171:172], v[213:214], s[22:23]
	v_add_f64 v[163:164], v[167:168], v[199:200]
	v_fma_f64 v[146:147], v[175:176], s[16:17], v[150:151]
	v_fma_f64 v[167:168], v[181:182], s[18:19], v[154:155]
	;; [unrolled: 1-line block ×3, first 2 shown]
	v_add_f64 v[148:149], v[2:3], v[0:1]
	v_fma_f64 v[199:200], v[175:176], s[16:17], -v[150:151]
	v_fma_f64 v[0:1], v[175:176], s[22:23], v[169:170]
	v_fma_f64 v[2:3], v[181:182], s[0:1], v[171:172]
	v_add_f64 v[150:151], v[144:145], v[173:174]
	v_add_f64 v[165:166], v[146:147], v[152:153]
	v_fma_f64 v[144:145], v[175:176], s[22:23], -v[169:170]
	v_add_f64 v[154:155], v[154:155], v[185:186]
	v_fma_f64 v[146:147], v[181:182], s[20:21], v[171:172]
	v_mul_f64 v[173:174], v[211:212], s[36:37]
	v_mul_f64 v[185:186], v[213:214], s[6:7]
	v_add_f64 v[169:170], v[0:1], v[192:193]
	v_add_f64 v[171:172], v[2:3], v[195:196]
	v_mul_f64 v[0:1], v[211:212], s[12:13]
	v_mul_f64 v[2:3], v[213:214], s[14:15]
	v_add_f64 v[203:204], v[223:224], v[203:204]
	v_add_f64 v[205:206], v[225:226], v[205:206]
	;; [unrolled: 1-line block ×6, first 2 shown]
	v_fma_f64 v[144:145], v[175:176], s[6:7], v[173:174]
	v_fma_f64 v[146:147], v[181:182], s[4:5], v[185:186]
	v_fma_f64 v[192:193], v[175:176], s[6:7], -v[173:174]
	v_fma_f64 v[195:196], v[175:176], s[14:15], v[0:1]
	v_fma_f64 v[199:200], v[181:182], s[28:29], v[2:3]
	;; [unrolled: 1-line block ×3, first 2 shown]
	v_fma_f64 v[0:1], v[175:176], s[14:15], -v[0:1]
	v_fma_f64 v[2:3], v[181:182], s[12:13], v[2:3]
	v_add_f64 v[173:174], v[144:145], v[203:204]
	v_add_f64 v[175:176], v[146:147], v[205:206]
	;; [unrolled: 1-line block ×8, first 2 shown]
	ds_write_b128 v160, v[177:180]
	ds_write_b128 v160, v[161:164] offset:16
	ds_write_b128 v160, v[165:168] offset:32
	;; [unrolled: 1-line block ×10, first 2 shown]
	s_waitcnt lgkmcnt(0)
	s_barrier
	ds_read_b128 v[160:163], v190
	ds_read_b128 v[184:187], v190 offset:1936
	ds_read_b128 v[180:183], v190 offset:3872
	;; [unrolled: 1-line block ×6, first 2 shown]
	s_and_saveexec_b64 s[0:1], vcc
	s_cbranch_execz .LBB0_7
; %bb.6:
	ds_read_b128 v[144:147], v190 offset:1232
	ds_read_b128 v[156:159], v190 offset:3168
	;; [unrolled: 1-line block ×7, first 2 shown]
.LBB0_7:
	s_or_b64 exec, exec, s[0:1]
	s_waitcnt lgkmcnt(5)
	v_mul_f64 v[0:1], v[82:83], v[186:187]
	v_mul_f64 v[2:3], v[82:83], v[184:185]
	s_waitcnt lgkmcnt(4)
	v_mul_f64 v[82:83], v[78:79], v[182:183]
	v_mul_f64 v[78:79], v[78:79], v[180:181]
	s_waitcnt lgkmcnt(0)
	v_mul_f64 v[192:193], v[86:87], v[178:179]
	s_mov_b32 s14, 0x37e14327
	s_mov_b32 s4, 0x36b3c0b5
	;; [unrolled: 1-line block ×3, first 2 shown]
	v_fma_f64 v[0:1], v[80:81], v[184:185], v[0:1]
	v_fma_f64 v[2:3], v[80:81], v[186:187], -v[2:3]
	v_fma_f64 v[80:81], v[76:77], v[180:181], v[82:83]
	v_fma_f64 v[76:77], v[76:77], v[182:183], -v[78:79]
	v_mul_f64 v[78:79], v[86:87], v[176:177]
	v_mul_f64 v[82:83], v[74:75], v[170:171]
	;; [unrolled: 1-line block ×7, first 2 shown]
	v_fma_f64 v[176:177], v[84:85], v[176:177], v[192:193]
	v_fma_f64 v[78:79], v[84:85], v[178:179], -v[78:79]
	v_fma_f64 v[82:83], v[72:73], v[168:169], v[82:83]
	v_fma_f64 v[72:73], v[72:73], v[170:171], -v[74:75]
	;; [unrolled: 2-line block ×4, first 2 shown]
	v_add_f64 v[70:71], v[0:1], v[176:177]
	v_add_f64 v[88:89], v[2:3], v[78:79]
	v_add_f64 v[2:3], v[2:3], -v[78:79]
	v_add_f64 v[0:1], v[0:1], -v[176:177]
	v_add_f64 v[78:79], v[80:81], v[74:75]
	v_add_f64 v[90:91], v[76:77], v[84:85]
	v_add_f64 v[74:75], v[80:81], -v[74:75]
	v_add_f64 v[76:77], v[76:77], -v[84:85]
	v_add_f64 v[80:81], v[82:83], v[86:87]
	v_add_f64 v[84:85], v[72:73], v[68:69]
	v_add_f64 v[82:83], v[86:87], -v[82:83]
	v_add_f64 v[68:69], v[68:69], -v[72:73]
	v_add_f64 v[72:73], v[78:79], v[70:71]
	v_add_f64 v[86:87], v[90:91], v[88:89]
	v_add_f64 v[164:165], v[78:79], -v[70:71]
	v_add_f64 v[166:167], v[90:91], -v[88:89]
	v_add_f64 v[168:169], v[70:71], -v[80:81]
	v_add_f64 v[88:89], v[88:89], -v[84:85]
	;; [unrolled: 1-line block ×4, first 2 shown]
	v_add_f64 v[70:71], v[82:83], v[74:75]
	v_add_f64 v[170:171], v[68:69], v[76:77]
	v_add_f64 v[172:173], v[82:83], -v[74:75]
	v_add_f64 v[174:175], v[68:69], -v[76:77]
	v_add_f64 v[72:73], v[80:81], v[72:73]
	v_add_f64 v[80:81], v[84:85], v[86:87]
	v_add_f64 v[74:75], v[74:75], -v[0:1]
	v_add_f64 v[76:77], v[76:77], -v[2:3]
	s_mov_b32 s15, 0x3fe948f6
	s_mov_b32 s5, 0x3fac98ee
	;; [unrolled: 1-line block ×4, first 2 shown]
	v_add_f64 v[82:83], v[0:1], -v[82:83]
	v_add_f64 v[84:85], v[2:3], -v[68:69]
	v_add_f64 v[0:1], v[70:71], v[0:1]
	v_add_f64 v[2:3], v[170:171], v[2:3]
	;; [unrolled: 1-line block ×4, first 2 shown]
	v_mul_f64 v[86:87], v[168:169], s[14:15]
	v_mul_f64 v[88:89], v[88:89], s[14:15]
	;; [unrolled: 1-line block ×6, first 2 shown]
	s_mov_b32 s1, 0xbfebfeb5
	v_mul_f64 v[172:173], v[74:75], s[0:1]
	v_mul_f64 v[174:175], v[76:77], s[0:1]
	s_mov_b32 s16, 0xaaaaaaaa
	s_mov_b32 s6, 0x5476071b
	;; [unrolled: 1-line block ×8, first 2 shown]
	v_fma_f64 v[72:73], v[72:73], s[16:17], v[68:69]
	v_fma_f64 v[80:81], v[80:81], s[16:17], v[70:71]
	;; [unrolled: 1-line block ×4, first 2 shown]
	v_fma_f64 v[160:161], v[164:165], s[6:7], -v[160:161]
	v_fma_f64 v[162:163], v[166:167], s[6:7], -v[162:163]
	;; [unrolled: 1-line block ×4, first 2 shown]
	v_fma_f64 v[164:165], v[82:83], s[22:23], v[168:169]
	v_fma_f64 v[166:167], v[84:85], s[22:23], v[170:171]
	s_mov_b32 s25, 0x3fd5d0dc
	s_mov_b32 s24, s22
	v_fma_f64 v[82:83], v[82:83], s[24:25], -v[172:173]
	v_fma_f64 v[84:85], v[84:85], s[24:25], -v[174:175]
	;; [unrolled: 1-line block ×4, first 2 shown]
	s_mov_b32 s18, 0x37c3f68c
	s_mov_b32 s19, 0xbfdc38aa
	v_add_f64 v[168:169], v[78:79], v[72:73]
	v_add_f64 v[170:171], v[90:91], v[80:81]
	v_fma_f64 v[166:167], v[2:3], s[18:19], v[166:167]
	v_fma_f64 v[164:165], v[0:1], s[18:19], v[164:165]
	v_add_f64 v[90:91], v[160:161], v[72:73]
	v_add_f64 v[160:161], v[162:163], v[80:81]
	;; [unrolled: 1-line block ×4, first 2 shown]
	v_fma_f64 v[88:89], v[2:3], s[18:19], v[84:85]
	v_fma_f64 v[174:175], v[0:1], s[18:19], v[82:83]
	;; [unrolled: 1-line block ×4, first 2 shown]
	v_add_f64 v[72:73], v[166:167], v[168:169]
	v_add_f64 v[74:75], v[170:171], -v[164:165]
	s_barrier
	v_add_f64 v[76:77], v[88:89], v[162:163]
	v_add_f64 v[78:79], v[172:173], -v[174:175]
	v_add_f64 v[80:81], v[90:91], -v[2:3]
	v_add_f64 v[82:83], v[0:1], v[160:161]
	v_add_f64 v[84:85], v[2:3], v[90:91]
	v_add_f64 v[86:87], v[160:161], -v[0:1]
	v_add_f64 v[88:89], v[162:163], -v[88:89]
	v_add_f64 v[90:91], v[174:175], v[172:173]
	v_add_f64 v[160:161], v[168:169], -v[166:167]
	v_add_f64 v[162:163], v[164:165], v[170:171]
	ds_write_b128 v194, v[68:71]
	ds_write_b128 v194, v[72:75] offset:176
	ds_write_b128 v194, v[76:79] offset:352
	;; [unrolled: 1-line block ×6, first 2 shown]
	s_and_saveexec_b64 s[26:27], vcc
	s_cbranch_execz .LBB0_9
; %bb.8:
	v_mul_f64 v[0:1], v[54:55], v[158:159]
	v_mul_f64 v[2:3], v[62:63], v[142:143]
	v_mul_f64 v[68:69], v[46:47], v[134:135]
	v_mul_f64 v[70:71], v[50:51], v[150:151]
	v_mul_f64 v[72:73], v[58:59], v[154:155]
	v_mul_f64 v[74:75], v[66:67], v[138:139]
	v_mul_f64 v[62:63], v[62:63], v[140:141]
	v_mul_f64 v[54:55], v[54:55], v[156:157]
	v_mul_f64 v[66:67], v[66:67], v[136:137]
	v_mul_f64 v[58:59], v[58:59], v[152:153]
	v_fma_f64 v[68:69], v[44:45], v[132:133], v[68:69]
	v_fma_f64 v[70:71], v[48:49], v[148:149], v[70:71]
	;; [unrolled: 1-line block ×4, first 2 shown]
	v_fma_f64 v[62:63], v[60:61], v[142:143], -v[62:63]
	v_fma_f64 v[54:55], v[52:53], v[158:159], -v[54:55]
	;; [unrolled: 1-line block ×4, first 2 shown]
	v_mul_f64 v[50:51], v[50:51], v[148:149]
	v_mul_f64 v[46:47], v[46:47], v[132:133]
	v_fma_f64 v[0:1], v[52:53], v[156:157], v[0:1]
	v_fma_f64 v[2:3], v[60:61], v[140:141], v[2:3]
	v_add_f64 v[52:53], v[68:69], -v[70:71]
	v_add_f64 v[58:59], v[72:73], -v[74:75]
	v_add_f64 v[60:61], v[54:55], v[62:63]
	v_add_f64 v[66:67], v[56:57], v[64:65]
	v_fma_f64 v[48:49], v[48:49], v[150:151], -v[50:51]
	v_fma_f64 v[44:45], v[44:45], v[134:135], -v[46:47]
	v_add_f64 v[68:69], v[70:71], v[68:69]
	v_add_f64 v[50:51], v[0:1], -v[2:3]
	v_add_f64 v[0:1], v[0:1], v[2:3]
	v_add_f64 v[46:47], v[52:53], -v[58:59]
	v_add_f64 v[2:3], v[72:73], v[74:75]
	v_add_f64 v[76:77], v[66:67], v[60:61]
	v_add_f64 v[56:57], v[56:57], -v[64:65]
	v_add_f64 v[78:79], v[48:49], v[44:45]
	v_add_f64 v[48:49], v[44:45], -v[48:49]
	v_add_f64 v[80:81], v[50:51], -v[52:53]
	v_add_f64 v[54:55], v[54:55], -v[62:63]
	v_mul_f64 v[72:73], v[46:47], s[12:13]
	v_add_f64 v[46:47], v[52:53], v[58:59]
	v_add_f64 v[70:71], v[2:3], v[0:1]
	v_add_f64 v[52:53], v[78:79], v[76:77]
	v_add_f64 v[82:83], v[60:61], -v[78:79]
	v_add_f64 v[78:79], v[78:79], -v[66:67]
	v_add_f64 v[84:85], v[48:49], -v[56:57]
	v_add_f64 v[60:61], v[66:67], -v[60:61]
	v_add_f64 v[76:77], v[46:47], v[50:51]
	v_add_f64 v[64:65], v[68:69], v[70:71]
	v_add_f64 v[70:71], v[0:1], -v[68:69]
	v_add_f64 v[46:47], v[146:147], v[52:53]
	v_mul_f64 v[82:83], v[82:83], s[14:15]
	v_mul_f64 v[62:63], v[78:79], s[4:5]
	v_add_f64 v[68:69], v[68:69], -v[2:3]
	v_add_f64 v[50:51], v[58:59], -v[50:51]
	;; [unrolled: 1-line block ×3, first 2 shown]
	v_add_f64 v[44:45], v[144:145], v[64:65]
	v_mul_f64 v[70:71], v[70:71], s[14:15]
	v_fma_f64 v[52:53], v[52:53], s[16:17], v[46:47]
	v_fma_f64 v[58:59], v[78:79], s[4:5], v[82:83]
	v_add_f64 v[78:79], v[54:55], -v[48:49]
	v_add_f64 v[48:49], v[48:49], v[56:57]
	v_mul_f64 v[84:85], v[84:85], s[12:13]
	v_add_f64 v[0:1], v[2:3], -v[0:1]
	v_fma_f64 v[56:57], v[64:65], s[16:17], v[44:45]
	v_fma_f64 v[64:65], v[68:69], s[4:5], v[70:71]
	v_mul_f64 v[88:89], v[50:51], s[0:1]
	v_add_f64 v[132:133], v[58:59], v[52:53]
	v_fma_f64 v[58:59], v[60:61], s[20:21], -v[82:83]
	v_add_f64 v[90:91], v[48:49], v[54:55]
	v_mul_f64 v[48:49], v[68:69], s[4:5]
	v_fma_f64 v[68:69], v[0:1], s[20:21], -v[70:71]
	v_fma_f64 v[60:61], v[60:61], s[6:7], -v[62:63]
	;; [unrolled: 1-line block ×3, first 2 shown]
	v_fma_f64 v[74:75], v[80:81], s[22:23], v[72:73]
	v_add_f64 v[64:65], v[64:65], v[56:57]
	v_add_f64 v[70:71], v[58:59], v[52:53]
	v_fma_f64 v[58:59], v[86:87], s[0:1], -v[84:85]
	v_fma_f64 v[0:1], v[0:1], s[6:7], -v[48:49]
	v_add_f64 v[72:73], v[68:69], v[56:57]
	v_add_f64 v[60:61], v[60:61], v[52:53]
	v_fma_f64 v[62:63], v[76:77], s[18:19], v[50:51]
	v_mul_f64 v[2:3], v[86:87], s[0:1]
	v_fma_f64 v[66:67], v[78:79], s[22:23], v[84:85]
	v_fma_f64 v[54:55], v[80:81], s[24:25], -v[88:89]
	v_fma_f64 v[74:75], v[76:77], s[18:19], v[74:75]
	v_add_f64 v[0:1], v[0:1], v[56:57]
	v_fma_f64 v[56:57], v[90:91], s[18:19], v[58:59]
	v_add_f64 v[58:59], v[60:61], -v[62:63]
	v_add_f64 v[62:63], v[62:63], v[60:61]
	v_fma_f64 v[2:3], v[78:79], s[24:25], -v[2:3]
	v_fma_f64 v[78:79], v[90:91], s[18:19], v[66:67]
	v_fma_f64 v[66:67], v[76:77], s[18:19], v[54:55]
	v_add_f64 v[50:51], v[74:75], v[132:133]
	v_add_f64 v[60:61], v[0:1], -v[56:57]
	v_add_f64 v[56:57], v[56:57], v[0:1]
	buffer_load_dword v1, off, s[40:43], 0 offset:16 ; 4-byte Folded Reload
	v_mul_u32_u24_e32 v0, 0x4d, v255
	v_fma_f64 v[2:3], v[90:91], s[18:19], v[2:3]
	v_add_f64 v[68:69], v[78:79], v[64:65]
	v_add_f64 v[54:55], v[66:67], v[70:71]
	v_add_f64 v[66:67], v[70:71], -v[66:67]
	v_add_f64 v[70:71], v[132:133], -v[74:75]
	;; [unrolled: 1-line block ×3, first 2 shown]
	v_add_f64 v[64:65], v[2:3], v[72:73]
	v_add_f64 v[52:53], v[72:73], -v[2:3]
	s_waitcnt vmcnt(0)
	v_add_u32_sdwa v0, v0, v1 dst_sel:DWORD dst_unused:UNUSED_PAD src0_sel:DWORD src1_sel:BYTE_0
	v_lshl_add_u32 v0, v0, 4, v191
	ds_write_b128 v0, v[44:47]
	ds_write_b128 v0, v[68:71] offset:176
	ds_write_b128 v0, v[64:67] offset:352
	;; [unrolled: 1-line block ×6, first 2 shown]
.LBB0_9:
	s_or_b64 exec, exec, s[26:27]
	s_waitcnt lgkmcnt(0)
	s_barrier
	ds_read_b128 v[44:47], v190 offset:1232
	ds_read_b128 v[56:59], v190
	ds_read_b128 v[48:51], v190 offset:2464
	ds_read_b128 v[52:55], v190 offset:3696
	s_mov_b32 s12, 0xf8bb580b
	s_waitcnt lgkmcnt(3)
	v_mul_f64 v[0:1], v[130:131], v[46:47]
	v_mul_f64 v[2:3], v[130:131], v[44:45]
	s_waitcnt lgkmcnt(1)
	v_mul_f64 v[60:61], v[122:123], v[50:51]
	v_mul_f64 v[62:63], v[122:123], v[48:49]
	;; [unrolled: 3-line block ×3, first 2 shown]
	s_mov_b32 s13, 0xbfe14ced
	s_mov_b32 s6, 0x8764f0ba
	v_fma_f64 v[0:1], v[128:129], v[44:45], v[0:1]
	v_fma_f64 v[2:3], v[128:129], v[46:47], -v[2:3]
	v_fma_f64 v[72:73], v[120:121], v[48:49], v[60:61]
	v_fma_f64 v[74:75], v[120:121], v[50:51], -v[62:63]
	ds_read_b128 v[44:47], v190 offset:4928
	ds_read_b128 v[48:51], v190 offset:6160
	v_fma_f64 v[76:77], v[104:105], v[52:53], v[64:65]
	v_fma_f64 v[78:79], v[104:105], v[54:55], -v[66:67]
	v_add_f64 v[60:61], v[56:57], v[0:1]
	v_add_f64 v[62:63], v[58:59], v[2:3]
	s_waitcnt lgkmcnt(1)
	v_mul_f64 v[68:69], v[98:99], v[46:47]
	v_mul_f64 v[70:71], v[98:99], v[44:45]
	s_waitcnt lgkmcnt(0)
	v_mul_f64 v[80:81], v[126:127], v[50:51]
	v_mul_f64 v[82:83], v[126:127], v[48:49]
	s_mov_b32 s0, 0x8eee2c13
	s_mov_b32 s4, 0xd9c712b6
	v_add_f64 v[64:65], v[60:61], v[72:73]
	v_add_f64 v[66:67], v[62:63], v[74:75]
	v_fma_f64 v[84:85], v[96:97], v[44:45], v[68:69]
	v_fma_f64 v[86:87], v[96:97], v[46:47], -v[70:71]
	ds_read_b128 v[52:55], v190 offset:7392
	ds_read_b128 v[60:63], v190 offset:8624
	v_fma_f64 v[48:49], v[124:125], v[48:49], v[80:81]
	v_fma_f64 v[50:51], v[124:125], v[50:51], -v[82:83]
	s_mov_b32 s16, 0x43842ef
	v_add_f64 v[88:89], v[64:65], v[76:77]
	v_add_f64 v[90:91], v[66:67], v[78:79]
	s_waitcnt lgkmcnt(1)
	v_mul_f64 v[96:97], v[110:111], v[54:55]
	v_mul_f64 v[98:99], v[110:111], v[52:53]
	ds_read_b128 v[44:47], v190 offset:9856
	ds_read_b128 v[64:67], v190 offset:11088
	;; [unrolled: 1-line block ×3, first 2 shown]
	s_mov_b32 s20, 0x640f44db
	s_mov_b32 s24, 0xbb3a28a1
	;; [unrolled: 1-line block ×3, first 2 shown]
	v_add_f64 v[80:81], v[88:89], v[84:85]
	v_add_f64 v[82:83], v[90:91], v[86:87]
	s_waitcnt lgkmcnt(3)
	v_mul_f64 v[88:89], v[102:103], v[62:63]
	v_mul_f64 v[90:91], v[102:103], v[60:61]
	v_fma_f64 v[52:53], v[108:109], v[52:53], v[96:97]
	v_fma_f64 v[54:55], v[108:109], v[54:55], -v[98:99]
	s_waitcnt lgkmcnt(0)
	v_mul_f64 v[96:97], v[118:119], v[68:69]
	v_mul_f64 v[98:99], v[94:95], v[46:47]
	v_add_f64 v[80:81], v[80:81], v[48:49]
	v_add_f64 v[82:83], v[82:83], v[50:51]
	v_mul_f64 v[94:95], v[94:95], v[44:45]
	v_fma_f64 v[60:61], v[100:101], v[60:61], v[88:89]
	v_fma_f64 v[62:63], v[100:101], v[62:63], -v[90:91]
	v_mul_f64 v[88:89], v[118:119], v[70:71]
	v_fma_f64 v[70:71], v[116:117], v[70:71], -v[96:97]
	v_mul_f64 v[90:91], v[114:115], v[66:67]
	v_add_f64 v[80:81], v[80:81], v[52:53]
	v_add_f64 v[82:83], v[82:83], v[54:55]
	v_mul_f64 v[96:97], v[114:115], v[64:65]
	v_fma_f64 v[98:99], v[92:93], v[44:45], v[98:99]
	v_fma_f64 v[92:93], v[92:93], v[46:47], -v[94:95]
	v_fma_f64 v[68:69], v[116:117], v[68:69], v[88:89]
	s_mov_b32 s30, 0xfd768dbf
	v_fma_f64 v[64:65], v[112:113], v[64:65], v[90:91]
	v_add_f64 v[44:45], v[80:81], v[60:61]
	v_add_f64 v[46:47], v[82:83], v[62:63]
	v_add_f64 v[80:81], v[2:3], -v[70:71]
	v_fma_f64 v[66:67], v[112:113], v[66:67], -v[96:97]
	v_add_f64 v[2:3], v[2:3], v[70:71]
	v_add_f64 v[82:83], v[0:1], v[68:69]
	s_mov_b32 s34, 0x9bcd5057
	s_mov_b32 s7, 0x3feaeb8c
	v_add_f64 v[44:45], v[44:45], v[98:99]
	v_add_f64 v[46:47], v[46:47], v[92:93]
	v_mul_f64 v[88:89], v[80:81], s[12:13]
	s_mov_b32 s1, 0xbfed1bb4
	s_mov_b32 s5, 0x3fda9628
	s_mov_b32 s17, 0xbfefac9e
	s_mov_b32 s21, 0xbfc2375f
	s_mov_b32 s25, 0xbfe82f19
	s_mov_b32 s27, 0xbfe4f49e
	s_mov_b32 s31, 0xbfd207e7
	s_mov_b32 s35, 0xbfeeb42a
	v_add_f64 v[0:1], v[0:1], -v[68:69]
	v_mul_f64 v[90:91], v[2:3], s[6:7]
	v_add_f64 v[44:45], v[44:45], v[64:65]
	v_add_f64 v[46:47], v[46:47], v[66:67]
	v_fma_f64 v[94:95], v[82:83], s[6:7], v[88:89]
	v_mul_f64 v[96:97], v[80:81], s[0:1]
	v_mul_f64 v[100:101], v[2:3], s[4:5]
	;; [unrolled: 1-line block ×8, first 2 shown]
	v_add_f64 v[120:121], v[74:75], -v[66:67]
	v_add_f64 v[66:67], v[74:75], v[66:67]
	s_mov_b32 s19, 0x3fe14ced
	s_mov_b32 s18, s12
	;; [unrolled: 1-line block ×10, first 2 shown]
	v_fma_f64 v[102:103], v[0:1], s[18:19], v[90:91]
	v_add_f64 v[44:45], v[44:45], v[68:69]
	v_add_f64 v[46:47], v[46:47], v[70:71]
	v_fma_f64 v[68:69], v[82:83], s[6:7], -v[88:89]
	v_add_f64 v[70:71], v[56:57], v[94:95]
	v_fma_f64 v[88:89], v[0:1], s[12:13], v[90:91]
	v_fma_f64 v[94:95], v[0:1], s[14:15], v[100:101]
	;; [unrolled: 1-line block ×9, first 2 shown]
	v_add_f64 v[124:125], v[72:73], v[64:65]
	v_add_f64 v[64:65], v[72:73], -v[64:65]
	v_mul_f64 v[72:73], v[120:121], s[0:1]
	v_mul_f64 v[126:127], v[66:67], s[4:5]
	v_fma_f64 v[0:1], v[0:1], s[30:31], v[2:3]
	v_fma_f64 v[90:91], v[82:83], s[4:5], v[96:97]
	v_add_f64 v[102:103], v[58:59], v[102:103]
	v_add_f64 v[68:69], v[56:57], v[68:69]
	;; [unrolled: 1-line block ×4, first 2 shown]
	v_fma_f64 v[96:97], v[82:83], s[4:5], -v[96:97]
	v_fma_f64 v[106:107], v[82:83], s[20:21], v[104:105]
	v_fma_f64 v[104:105], v[82:83], s[20:21], -v[104:105]
	v_fma_f64 v[116:117], v[82:83], s[26:27], v[110:111]
	v_add_f64 v[100:101], v[58:59], v[100:101]
	v_add_f64 v[114:115], v[58:59], v[114:115]
	;; [unrolled: 1-line block ×4, first 2 shown]
	v_fma_f64 v[110:111], v[82:83], s[26:27], -v[110:111]
	v_add_f64 v[112:113], v[58:59], v[112:113]
	v_fma_f64 v[80:81], v[82:83], s[34:35], -v[80:81]
	v_add_f64 v[2:3], v[56:57], v[74:75]
	v_add_f64 v[74:75], v[58:59], v[122:123]
	v_mul_f64 v[82:83], v[120:121], s[24:25]
	v_mul_f64 v[122:123], v[66:67], s[26:27]
	v_fma_f64 v[128:129], v[124:125], s[4:5], v[72:73]
	v_fma_f64 v[130:131], v[64:65], s[14:15], v[126:127]
	v_add_f64 v[0:1], v[58:59], v[0:1]
	v_fma_f64 v[58:59], v[124:125], s[4:5], -v[72:73]
	v_fma_f64 v[72:73], v[64:65], s[0:1], v[126:127]
	v_add_f64 v[90:91], v[56:57], v[90:91]
	v_add_f64 v[96:97], v[56:57], v[96:97]
	v_add_f64 v[106:107], v[56:57], v[106:107]
	v_add_f64 v[104:105], v[56:57], v[104:105]
	v_add_f64 v[116:117], v[56:57], v[116:117]
	v_add_f64 v[110:111], v[56:57], v[110:111]
	v_add_f64 v[56:57], v[56:57], v[80:81]
	v_fma_f64 v[80:81], v[124:125], s[26:27], v[82:83]
	v_fma_f64 v[126:127], v[64:65], s[28:29], v[122:123]
	v_add_f64 v[70:71], v[128:129], v[70:71]
	v_add_f64 v[102:103], v[130:131], v[102:103]
	v_mul_f64 v[128:129], v[120:121], s[36:37]
	v_mul_f64 v[130:131], v[66:67], s[34:35]
	v_add_f64 v[58:59], v[58:59], v[68:69]
	v_add_f64 v[68:69], v[72:73], v[88:89]
	v_fma_f64 v[82:83], v[124:125], s[26:27], -v[82:83]
	v_fma_f64 v[88:89], v[64:65], s[24:25], v[122:123]
	v_mul_f64 v[122:123], v[120:121], s[22:23]
	v_add_f64 v[72:73], v[80:81], v[90:91]
	v_add_f64 v[80:81], v[126:127], v[94:95]
	v_fma_f64 v[90:91], v[124:125], s[34:35], v[128:129]
	v_fma_f64 v[94:95], v[64:65], s[30:31], v[130:131]
	v_mul_f64 v[126:127], v[66:67], s[20:21]
	v_fma_f64 v[130:131], v[64:65], s[36:37], v[130:131]
	v_add_f64 v[82:83], v[82:83], v[96:97]
	v_fma_f64 v[96:97], v[124:125], s[20:21], v[122:123]
	v_mul_f64 v[66:67], v[66:67], s[6:7]
	v_add_f64 v[88:89], v[88:89], v[100:101]
	v_add_f64 v[90:91], v[90:91], v[106:107]
	;; [unrolled: 1-line block ×3, first 2 shown]
	v_fma_f64 v[114:115], v[64:65], s[22:23], v[126:127]
	v_add_f64 v[106:107], v[130:131], v[108:109]
	v_fma_f64 v[108:109], v[124:125], s[20:21], -v[122:123]
	v_add_f64 v[96:97], v[96:97], v[116:117]
	v_add_f64 v[116:117], v[78:79], -v[92:93]
	v_fma_f64 v[100:101], v[64:65], s[16:17], v[126:127]
	v_mul_f64 v[120:121], v[120:121], s[18:19]
	v_add_f64 v[78:79], v[78:79], v[92:93]
	v_fma_f64 v[128:129], v[124:125], s[34:35], -v[128:129]
	v_add_f64 v[92:93], v[108:109], v[110:111]
	v_add_f64 v[108:109], v[114:115], v[112:113]
	v_fma_f64 v[112:113], v[64:65], s[12:13], v[66:67]
	v_add_f64 v[114:115], v[76:77], v[98:99]
	v_add_f64 v[76:77], v[76:77], -v[98:99]
	v_mul_f64 v[98:99], v[116:117], s[16:17]
	v_add_f64 v[100:101], v[100:101], v[118:119]
	v_fma_f64 v[110:111], v[124:125], s[6:7], v[120:121]
	v_mul_f64 v[118:119], v[78:79], s[20:21]
	v_fma_f64 v[64:65], v[64:65], s[18:19], v[66:67]
	v_add_f64 v[66:67], v[112:113], v[74:75]
	v_mul_f64 v[74:75], v[116:117], s[36:37]
	v_fma_f64 v[120:121], v[124:125], s[6:7], -v[120:121]
	v_fma_f64 v[112:113], v[114:115], s[20:21], v[98:99]
	v_add_f64 v[104:105], v[128:129], v[104:105]
	v_add_f64 v[2:3], v[110:111], v[2:3]
	v_mul_f64 v[110:111], v[78:79], s[34:35]
	v_fma_f64 v[122:123], v[76:77], s[22:23], v[118:119]
	v_add_f64 v[0:1], v[64:65], v[0:1]
	v_fma_f64 v[64:65], v[114:115], s[20:21], -v[98:99]
	v_fma_f64 v[98:99], v[76:77], s[16:17], v[118:119]
	v_fma_f64 v[118:119], v[114:115], s[34:35], v[74:75]
	v_add_f64 v[70:71], v[112:113], v[70:71]
	v_mul_f64 v[112:113], v[116:117], s[14:15]
	v_add_f64 v[56:57], v[120:121], v[56:57]
	v_fma_f64 v[120:121], v[76:77], s[30:31], v[110:111]
	v_add_f64 v[102:103], v[122:123], v[102:103]
	v_mul_f64 v[122:123], v[78:79], s[4:5]
	v_add_f64 v[58:59], v[64:65], v[58:59]
	v_add_f64 v[64:65], v[98:99], v[68:69]
	;; [unrolled: 1-line block ×3, first 2 shown]
	v_fma_f64 v[74:75], v[114:115], s[34:35], -v[74:75]
	v_fma_f64 v[98:99], v[114:115], s[4:5], v[112:113]
	v_mul_f64 v[118:119], v[116:117], s[12:13]
	v_add_f64 v[72:73], v[120:121], v[80:81]
	v_fma_f64 v[80:81], v[76:77], s[36:37], v[110:111]
	v_fma_f64 v[110:111], v[76:77], s[0:1], v[122:123]
	v_fma_f64 v[112:113], v[114:115], s[4:5], -v[112:113]
	v_fma_f64 v[122:123], v[76:77], s[14:15], v[122:123]
	v_add_f64 v[74:75], v[74:75], v[82:83]
	v_add_f64 v[82:83], v[98:99], v[90:91]
	v_fma_f64 v[90:91], v[114:115], s[6:7], v[118:119]
	v_mul_f64 v[120:121], v[78:79], s[6:7]
	v_add_f64 v[80:81], v[80:81], v[88:89]
	v_add_f64 v[88:89], v[110:111], v[94:95]
	;; [unrolled: 1-line block ×4, first 2 shown]
	v_mul_f64 v[106:107], v[116:117], s[24:25]
	v_fma_f64 v[110:111], v[114:115], s[6:7], -v[118:119]
	v_add_f64 v[90:91], v[90:91], v[96:97]
	v_add_f64 v[96:97], v[86:87], -v[62:63]
	v_fma_f64 v[94:95], v[76:77], s[18:19], v[120:121]
	v_mul_f64 v[78:79], v[78:79], s[26:27]
	v_fma_f64 v[112:113], v[76:77], s[12:13], v[120:121]
	v_add_f64 v[62:63], v[86:87], v[62:63]
	v_fma_f64 v[86:87], v[114:115], s[26:27], v[106:107]
	v_add_f64 v[92:93], v[110:111], v[92:93]
	v_add_f64 v[110:111], v[84:85], v[60:61]
	v_add_f64 v[60:61], v[84:85], -v[60:61]
	v_mul_f64 v[84:85], v[96:97], s[24:25]
	v_add_f64 v[94:95], v[94:95], v[100:101]
	v_fma_f64 v[100:101], v[76:77], s[28:29], v[78:79]
	v_add_f64 v[108:109], v[112:113], v[108:109]
	v_mul_f64 v[112:113], v[62:63], s[26:27]
	v_add_f64 v[2:3], v[86:87], v[2:3]
	v_fma_f64 v[86:87], v[114:115], s[26:27], -v[106:107]
	v_fma_f64 v[76:77], v[76:77], s[24:25], v[78:79]
	v_fma_f64 v[106:107], v[110:111], s[26:27], v[84:85]
	v_fma_f64 v[84:85], v[110:111], s[26:27], -v[84:85]
	v_add_f64 v[66:67], v[100:101], v[66:67]
	v_mul_f64 v[78:79], v[96:97], s[22:23]
	v_mul_f64 v[100:101], v[62:63], s[20:21]
	v_fma_f64 v[114:115], v[60:61], s[28:29], v[112:113]
	v_fma_f64 v[112:113], v[60:61], s[24:25], v[112:113]
	v_add_f64 v[56:57], v[86:87], v[56:57]
	v_add_f64 v[0:1], v[76:77], v[0:1]
	;; [unrolled: 1-line block ×3, first 2 shown]
	v_mul_f64 v[84:85], v[96:97], s[12:13]
	v_fma_f64 v[76:77], v[110:111], s[20:21], v[78:79]
	v_fma_f64 v[86:87], v[60:61], s[16:17], v[100:101]
	v_add_f64 v[70:71], v[106:107], v[70:71]
	v_add_f64 v[64:65], v[112:113], v[64:65]
	v_mul_f64 v[106:107], v[62:63], s[6:7]
	v_fma_f64 v[78:79], v[110:111], s[20:21], -v[78:79]
	v_fma_f64 v[100:101], v[60:61], s[22:23], v[100:101]
	v_fma_f64 v[112:113], v[110:111], s[6:7], v[84:85]
	v_fma_f64 v[84:85], v[110:111], s[6:7], -v[84:85]
	v_add_f64 v[102:103], v[114:115], v[102:103]
	v_add_f64 v[68:69], v[76:77], v[68:69]
	;; [unrolled: 1-line block ×3, first 2 shown]
	v_mul_f64 v[76:77], v[96:97], s[30:31]
	v_mul_f64 v[86:87], v[62:63], s[34:35]
	v_fma_f64 v[114:115], v[60:61], s[18:19], v[106:107]
	v_fma_f64 v[106:107], v[60:61], s[12:13], v[106:107]
	v_add_f64 v[74:75], v[78:79], v[74:75]
	v_add_f64 v[78:79], v[100:101], v[80:81]
	;; [unrolled: 1-line block ×3, first 2 shown]
	v_add_f64 v[98:99], v[50:51], -v[54:55]
	v_add_f64 v[100:101], v[50:51], v[54:55]
	v_mul_f64 v[54:55], v[62:63], s[4:5]
	v_fma_f64 v[116:117], v[110:111], s[34:35], v[76:77]
	v_fma_f64 v[118:119], v[60:61], s[36:37], v[86:87]
	v_add_f64 v[80:81], v[112:113], v[82:83]
	v_add_f64 v[82:83], v[114:115], v[88:89]
	;; [unrolled: 1-line block ×3, first 2 shown]
	v_mul_f64 v[50:51], v[96:97], s[14:15]
	v_fma_f64 v[62:63], v[110:111], s[34:35], -v[76:77]
	v_fma_f64 v[76:77], v[60:61], s[30:31], v[86:87]
	v_add_f64 v[86:87], v[48:49], v[52:53]
	v_add_f64 v[96:97], v[48:49], -v[52:53]
	v_mul_f64 v[52:53], v[98:99], s[30:31]
	v_mul_f64 v[104:105], v[100:101], s[34:35]
	v_fma_f64 v[106:107], v[60:61], s[0:1], v[54:55]
	v_fma_f64 v[48:49], v[110:111], s[4:5], v[50:51]
	v_add_f64 v[92:93], v[62:63], v[92:93]
	v_add_f64 v[108:109], v[76:77], v[108:109]
	v_fma_f64 v[50:51], v[110:111], s[4:5], -v[50:51]
	v_fma_f64 v[54:55], v[60:61], s[14:15], v[54:55]
	v_fma_f64 v[60:61], v[86:87], s[34:35], v[52:53]
	;; [unrolled: 1-line block ×3, first 2 shown]
	v_add_f64 v[106:107], v[106:107], v[66:67]
	v_mul_f64 v[66:67], v[98:99], s[18:19]
	v_mul_f64 v[76:77], v[100:101], s[6:7]
	v_add_f64 v[2:3], v[48:49], v[2:3]
	v_add_f64 v[110:111], v[50:51], v[56:57]
	;; [unrolled: 1-line block ×5, first 2 shown]
	v_fma_f64 v[52:53], v[86:87], s[34:35], -v[52:53]
	v_fma_f64 v[54:55], v[96:97], s[30:31], v[104:105]
	v_fma_f64 v[56:57], v[86:87], s[6:7], v[66:67]
	;; [unrolled: 1-line block ×3, first 2 shown]
	v_mul_f64 v[70:71], v[98:99], s[24:25]
	v_fma_f64 v[62:63], v[86:87], s[6:7], -v[66:67]
	v_fma_f64 v[66:67], v[96:97], s[18:19], v[76:77]
	v_mul_f64 v[76:77], v[100:101], s[26:27]
	v_add_f64 v[52:53], v[52:53], v[58:59]
	v_add_f64 v[54:55], v[54:55], v[64:65]
	;; [unrolled: 1-line block ×4, first 2 shown]
	v_fma_f64 v[64:65], v[86:87], s[26:27], v[70:71]
	v_add_f64 v[60:61], v[62:63], v[74:75]
	v_add_f64 v[62:63], v[66:67], v[78:79]
	v_fma_f64 v[66:67], v[96:97], s[28:29], v[76:77]
	v_mul_f64 v[72:73], v[98:99], s[14:15]
	v_mul_f64 v[74:75], v[100:101], s[4:5]
	v_fma_f64 v[68:69], v[86:87], s[26:27], -v[70:71]
	v_fma_f64 v[70:71], v[96:97], s[24:25], v[76:77]
	v_mul_f64 v[76:77], v[98:99], s[16:17]
	v_mul_f64 v[78:79], v[100:101], s[20:21]
	v_add_f64 v[90:91], v[116:117], v[90:91]
	v_add_f64 v[94:95], v[118:119], v[94:95]
	;; [unrolled: 1-line block ×4, first 2 shown]
	v_fma_f64 v[80:81], v[86:87], s[4:5], v[72:73]
	v_fma_f64 v[82:83], v[96:97], s[0:1], v[74:75]
	v_add_f64 v[70:71], v[70:71], v[88:89]
	v_fma_f64 v[88:89], v[86:87], s[20:21], v[76:77]
	v_fma_f64 v[98:99], v[96:97], s[22:23], v[78:79]
	v_add_f64 v[68:69], v[68:69], v[84:85]
	v_fma_f64 v[84:85], v[86:87], s[4:5], -v[72:73]
	v_fma_f64 v[86:87], v[86:87], s[20:21], -v[76:77]
	v_fma_f64 v[78:79], v[96:97], s[16:17], v[78:79]
	v_fma_f64 v[96:97], v[96:97], s[14:15], v[74:75]
	v_add_f64 v[72:73], v[80:81], v[90:91]
	v_add_f64 v[74:75], v[82:83], v[94:95]
	;; [unrolled: 1-line block ×8, first 2 shown]
	ds_write_b128 v190, v[44:47]
	ds_write_b128 v190, v[48:51] offset:1232
	ds_write_b128 v190, v[56:59] offset:2464
	;; [unrolled: 1-line block ×10, first 2 shown]
	s_waitcnt lgkmcnt(0)
	s_barrier
	ds_read_b128 v[44:47], v190
	ds_read_b128 v[48:51], v190 offset:1232
	v_mad_u64_u32 v[0:1], s[0:1], s10, v188, 0
	s_waitcnt lgkmcnt(1)
	v_mul_f64 v[2:3], v[42:43], v[46:47]
	v_mul_f64 v[42:43], v[42:43], v[44:45]
	v_mad_u64_u32 v[52:53], s[0:1], s11, v188, v[1:2]
	v_mad_u64_u32 v[53:54], s[0:1], s8, v189, 0
	v_fma_f64 v[2:3], v[40:41], v[44:45], v[2:3]
	v_fma_f64 v[42:43], v[40:41], v[46:47], -v[42:43]
	v_mov_b32_e32 v40, v54
	v_mad_u64_u32 v[44:45], s[0:1], s9, v189, v[40:41]
	s_mov_b32 s0, 0xe9078e5b
	s_mov_b32 s1, 0x3f5357f3
	v_mov_b32_e32 v1, v52
	v_mul_f64 v[40:41], v[2:3], s[0:1]
	s_waitcnt lgkmcnt(0)
	v_mul_f64 v[2:3], v[26:27], v[50:51]
	v_mul_f64 v[26:27], v[26:27], v[48:49]
	;; [unrolled: 1-line block ×3, first 2 shown]
	v_lshlrev_b64 v[0:1], 4, v[0:1]
	v_mov_b32_e32 v54, v44
	v_mov_b32_e32 v44, s3
	v_add_co_u32_e32 v45, vcc, s2, v0
	v_fma_f64 v[2:3], v[24:25], v[48:49], v[2:3]
	v_fma_f64 v[48:49], v[24:25], v[50:51], -v[26:27]
	ds_read_b128 v[24:27], v190 offset:2464
	v_addc_co_u32_e32 v44, vcc, v44, v1, vcc
	v_lshlrev_b64 v[0:1], 4, v[53:54]
	s_mul_i32 s2, s9, 0x4d0
	v_add_co_u32_e32 v0, vcc, v45, v0
	v_addc_co_u32_e32 v1, vcc, v44, v1, vcc
	ds_read_b128 v[44:47], v190 offset:3696
	global_store_dwordx4 v[0:1], v[40:43], off
	s_mul_hi_u32 s3, s8, 0x4d0
	v_mul_f64 v[40:41], v[2:3], s[0:1]
	s_waitcnt lgkmcnt(1)
	v_mul_f64 v[2:3], v[30:31], v[26:27]
	v_mul_f64 v[30:31], v[30:31], v[24:25]
	;; [unrolled: 1-line block ×3, first 2 shown]
	s_waitcnt lgkmcnt(0)
	v_mul_f64 v[48:49], v[10:11], v[46:47]
	v_mul_f64 v[10:11], v[10:11], v[44:45]
	s_add_i32 s2, s3, s2
	s_mul_i32 s3, s8, 0x4d0
	v_mov_b32_e32 v50, s2
	v_fma_f64 v[2:3], v[28:29], v[24:25], v[2:3]
	v_fma_f64 v[26:27], v[28:29], v[26:27], -v[30:31]
	ds_read_b128 v[28:31], v190 offset:4928
	v_add_co_u32_e32 v0, vcc, s3, v0
	v_addc_co_u32_e32 v1, vcc, v1, v50, vcc
	global_store_dwordx4 v[0:1], v[40:43], off
	v_mul_f64 v[24:25], v[2:3], s[0:1]
	v_mul_f64 v[26:27], v[26:27], s[0:1]
	v_fma_f64 v[2:3], v[8:9], v[44:45], v[48:49]
	v_fma_f64 v[40:41], v[8:9], v[46:47], -v[10:11]
	ds_read_b128 v[8:11], v190 offset:6160
	s_waitcnt lgkmcnt(1)
	v_mul_f64 v[42:43], v[38:39], v[30:31]
	v_mul_f64 v[38:39], v[38:39], v[28:29]
	v_add_co_u32_e32 v0, vcc, s3, v0
	v_addc_co_u32_e32 v1, vcc, v1, v50, vcc
	global_store_dwordx4 v[0:1], v[24:27], off
	v_add_co_u32_e32 v0, vcc, s3, v0
	v_mul_f64 v[24:25], v[2:3], s[0:1]
	v_mul_f64 v[26:27], v[40:41], s[0:1]
	v_fma_f64 v[2:3], v[36:37], v[28:29], v[42:43]
	v_fma_f64 v[28:29], v[36:37], v[30:31], -v[38:39]
	s_waitcnt lgkmcnt(0)
	v_mul_f64 v[36:37], v[18:19], v[10:11]
	v_mul_f64 v[18:19], v[18:19], v[8:9]
	v_mov_b32_e32 v40, s2
	v_addc_co_u32_e32 v1, vcc, v1, v40, vcc
	global_store_dwordx4 v[0:1], v[24:27], off
	v_mov_b32_e32 v38, s2
	v_mul_f64 v[26:27], v[28:29], s[0:1]
	ds_read_b128 v[28:31], v190 offset:7392
	v_mul_f64 v[24:25], v[2:3], s[0:1]
	v_fma_f64 v[2:3], v[16:17], v[8:9], v[36:37]
	v_fma_f64 v[18:19], v[16:17], v[10:11], -v[18:19]
	ds_read_b128 v[8:11], v190 offset:8624
	s_waitcnt lgkmcnt(1)
	v_mul_f64 v[36:37], v[6:7], v[30:31]
	v_mul_f64 v[6:7], v[6:7], v[28:29]
	v_add_co_u32_e32 v0, vcc, s3, v0
	v_addc_co_u32_e32 v1, vcc, v1, v38, vcc
	v_mul_f64 v[16:17], v[2:3], s[0:1]
	v_mul_f64 v[18:19], v[18:19], s[0:1]
	v_fma_f64 v[2:3], v[4:5], v[28:29], v[36:37]
	v_fma_f64 v[6:7], v[4:5], v[30:31], -v[6:7]
	global_store_dwordx4 v[0:1], v[24:27], off
	v_add_co_u32_e32 v0, vcc, s3, v0
	s_waitcnt lgkmcnt(0)
	v_mul_f64 v[24:25], v[34:35], v[10:11]
	v_mul_f64 v[26:27], v[34:35], v[8:9]
	v_addc_co_u32_e32 v1, vcc, v1, v38, vcc
	global_store_dwordx4 v[0:1], v[16:19], off
	ds_read_b128 v[16:19], v190 offset:9856
	v_mul_f64 v[4:5], v[2:3], s[0:1]
	v_mul_f64 v[6:7], v[6:7], s[0:1]
	v_fma_f64 v[2:3], v[32:33], v[8:9], v[24:25]
	v_fma_f64 v[24:25], v[32:33], v[10:11], -v[26:27]
	ds_read_b128 v[8:11], v190 offset:11088
	s_waitcnt lgkmcnt(1)
	v_mul_f64 v[26:27], v[14:15], v[18:19]
	v_mul_f64 v[14:15], v[14:15], v[16:17]
	v_mov_b32_e32 v28, s2
	v_add_co_u32_e32 v0, vcc, s3, v0
	v_addc_co_u32_e32 v1, vcc, v1, v28, vcc
	global_store_dwordx4 v[0:1], v[4:7], off
	v_add_co_u32_e32 v0, vcc, s3, v0
	v_mul_f64 v[4:5], v[2:3], s[0:1]
	v_fma_f64 v[2:3], v[12:13], v[16:17], v[26:27]
	v_fma_f64 v[16:17], v[12:13], v[18:19], -v[14:15]
	ds_read_b128 v[12:15], v190 offset:12320
	buffer_load_dword v28, off, s[40:43], 0 ; 4-byte Folded Reload
	buffer_load_dword v29, off, s[40:43], 0 offset:4 ; 4-byte Folded Reload
	buffer_load_dword v30, off, s[40:43], 0 offset:8 ; 4-byte Folded Reload
	;; [unrolled: 1-line block ×3, first 2 shown]
	v_mul_f64 v[6:7], v[24:25], s[0:1]
	v_mov_b32_e32 v24, s2
	v_addc_co_u32_e32 v1, vcc, v1, v24, vcc
	s_waitcnt lgkmcnt(0)
	v_mul_f64 v[26:27], v[22:23], v[14:15]
	v_mul_f64 v[22:23], v[22:23], v[12:13]
	;; [unrolled: 1-line block ×3, first 2 shown]
	global_store_dwordx4 v[0:1], v[4:7], off
	s_nop 0
	v_mul_f64 v[4:5], v[16:17], s[0:1]
	v_mov_b32_e32 v16, s2
	s_waitcnt vmcnt(1)
	v_mul_f64 v[18:19], v[30:31], v[10:11]
	v_mul_f64 v[24:25], v[30:31], v[8:9]
	v_fma_f64 v[6:7], v[28:29], v[8:9], v[18:19]
	v_fma_f64 v[8:9], v[28:29], v[10:11], -v[24:25]
	v_fma_f64 v[10:11], v[20:21], v[12:13], v[26:27]
	v_fma_f64 v[12:13], v[20:21], v[14:15], -v[22:23]
	v_add_co_u32_e32 v14, vcc, s3, v0
	v_addc_co_u32_e32 v15, vcc, v1, v16, vcc
	global_store_dwordx4 v[14:15], v[2:5], off
	v_mul_f64 v[0:1], v[6:7], s[0:1]
	v_mul_f64 v[2:3], v[8:9], s[0:1]
	;; [unrolled: 1-line block ×4, first 2 shown]
	v_mov_b32_e32 v9, s2
	v_add_co_u32_e32 v8, vcc, s3, v14
	v_addc_co_u32_e32 v9, vcc, v15, v9, vcc
	global_store_dwordx4 v[8:9], v[0:3], off
	s_nop 0
	v_mov_b32_e32 v1, s2
	v_add_co_u32_e32 v0, vcc, s3, v8
	v_addc_co_u32_e32 v1, vcc, v9, v1, vcc
	global_store_dwordx4 v[0:1], v[4:7], off
.LBB0_10:
	s_endpgm
	.section	.rodata,"a",@progbits
	.p2align	6, 0x0
	.amdhsa_kernel bluestein_single_fwd_len847_dim1_dp_op_CI_CI
		.amdhsa_group_segment_fixed_size 40656
		.amdhsa_private_segment_fixed_size 24
		.amdhsa_kernarg_size 104
		.amdhsa_user_sgpr_count 6
		.amdhsa_user_sgpr_private_segment_buffer 1
		.amdhsa_user_sgpr_dispatch_ptr 0
		.amdhsa_user_sgpr_queue_ptr 0
		.amdhsa_user_sgpr_kernarg_segment_ptr 1
		.amdhsa_user_sgpr_dispatch_id 0
		.amdhsa_user_sgpr_flat_scratch_init 0
		.amdhsa_user_sgpr_private_segment_size 0
		.amdhsa_uses_dynamic_stack 0
		.amdhsa_system_sgpr_private_segment_wavefront_offset 1
		.amdhsa_system_sgpr_workgroup_id_x 1
		.amdhsa_system_sgpr_workgroup_id_y 0
		.amdhsa_system_sgpr_workgroup_id_z 0
		.amdhsa_system_sgpr_workgroup_info 0
		.amdhsa_system_vgpr_workitem_id 0
		.amdhsa_next_free_vgpr 256
		.amdhsa_next_free_sgpr 44
		.amdhsa_reserve_vcc 1
		.amdhsa_reserve_flat_scratch 0
		.amdhsa_float_round_mode_32 0
		.amdhsa_float_round_mode_16_64 0
		.amdhsa_float_denorm_mode_32 3
		.amdhsa_float_denorm_mode_16_64 3
		.amdhsa_dx10_clamp 1
		.amdhsa_ieee_mode 1
		.amdhsa_fp16_overflow 0
		.amdhsa_exception_fp_ieee_invalid_op 0
		.amdhsa_exception_fp_denorm_src 0
		.amdhsa_exception_fp_ieee_div_zero 0
		.amdhsa_exception_fp_ieee_overflow 0
		.amdhsa_exception_fp_ieee_underflow 0
		.amdhsa_exception_fp_ieee_inexact 0
		.amdhsa_exception_int_div_zero 0
	.end_amdhsa_kernel
	.text
.Lfunc_end0:
	.size	bluestein_single_fwd_len847_dim1_dp_op_CI_CI, .Lfunc_end0-bluestein_single_fwd_len847_dim1_dp_op_CI_CI
                                        ; -- End function
	.section	.AMDGPU.csdata,"",@progbits
; Kernel info:
; codeLenInByte = 18996
; NumSgprs: 48
; NumVgprs: 256
; ScratchSize: 24
; MemoryBound: 0
; FloatMode: 240
; IeeeMode: 1
; LDSByteSize: 40656 bytes/workgroup (compile time only)
; SGPRBlocks: 5
; VGPRBlocks: 63
; NumSGPRsForWavesPerEU: 48
; NumVGPRsForWavesPerEU: 256
; Occupancy: 1
; WaveLimiterHint : 1
; COMPUTE_PGM_RSRC2:SCRATCH_EN: 1
; COMPUTE_PGM_RSRC2:USER_SGPR: 6
; COMPUTE_PGM_RSRC2:TRAP_HANDLER: 0
; COMPUTE_PGM_RSRC2:TGID_X_EN: 1
; COMPUTE_PGM_RSRC2:TGID_Y_EN: 0
; COMPUTE_PGM_RSRC2:TGID_Z_EN: 0
; COMPUTE_PGM_RSRC2:TIDIG_COMP_CNT: 0
	.type	__hip_cuid_a2ebd79274b7219a,@object ; @__hip_cuid_a2ebd79274b7219a
	.section	.bss,"aw",@nobits
	.globl	__hip_cuid_a2ebd79274b7219a
__hip_cuid_a2ebd79274b7219a:
	.byte	0                               ; 0x0
	.size	__hip_cuid_a2ebd79274b7219a, 1

	.ident	"AMD clang version 19.0.0git (https://github.com/RadeonOpenCompute/llvm-project roc-6.4.0 25133 c7fe45cf4b819c5991fe208aaa96edf142730f1d)"
	.section	".note.GNU-stack","",@progbits
	.addrsig
	.addrsig_sym __hip_cuid_a2ebd79274b7219a
	.amdgpu_metadata
---
amdhsa.kernels:
  - .args:
      - .actual_access:  read_only
        .address_space:  global
        .offset:         0
        .size:           8
        .value_kind:     global_buffer
      - .actual_access:  read_only
        .address_space:  global
        .offset:         8
        .size:           8
        .value_kind:     global_buffer
      - .actual_access:  read_only
        .address_space:  global
        .offset:         16
        .size:           8
        .value_kind:     global_buffer
      - .actual_access:  read_only
        .address_space:  global
        .offset:         24
        .size:           8
        .value_kind:     global_buffer
      - .actual_access:  read_only
        .address_space:  global
        .offset:         32
        .size:           8
        .value_kind:     global_buffer
      - .offset:         40
        .size:           8
        .value_kind:     by_value
      - .address_space:  global
        .offset:         48
        .size:           8
        .value_kind:     global_buffer
      - .address_space:  global
        .offset:         56
        .size:           8
        .value_kind:     global_buffer
      - .address_space:  global
        .offset:         64
        .size:           8
        .value_kind:     global_buffer
      - .address_space:  global
        .offset:         72
        .size:           8
        .value_kind:     global_buffer
      - .offset:         80
        .size:           4
        .value_kind:     by_value
      - .address_space:  global
        .offset:         88
        .size:           8
        .value_kind:     global_buffer
      - .address_space:  global
        .offset:         96
        .size:           8
        .value_kind:     global_buffer
    .group_segment_fixed_size: 40656
    .kernarg_segment_align: 8
    .kernarg_segment_size: 104
    .language:       OpenCL C
    .language_version:
      - 2
      - 0
    .max_flat_workgroup_size: 231
    .name:           bluestein_single_fwd_len847_dim1_dp_op_CI_CI
    .private_segment_fixed_size: 24
    .sgpr_count:     48
    .sgpr_spill_count: 0
    .symbol:         bluestein_single_fwd_len847_dim1_dp_op_CI_CI.kd
    .uniform_work_group_size: 1
    .uses_dynamic_stack: false
    .vgpr_count:     256
    .vgpr_spill_count: 5
    .wavefront_size: 64
amdhsa.target:   amdgcn-amd-amdhsa--gfx906
amdhsa.version:
  - 1
  - 2
...

	.end_amdgpu_metadata
